;; amdgpu-corpus repo=zjin-lcf/HeCBench kind=compiled arch=gfx90a opt=O3
	.text
	.amdgcn_target "amdgcn-amd-amdhsa--gfx90a"
	.amdhsa_code_object_version 6
	.protected	_Z6InputsPiPN2rw3CutEi  ; -- Begin function _Z6InputsPiPN2rw3CutEi
	.globl	_Z6InputsPiPN2rw3CutEi
	.p2align	8
	.type	_Z6InputsPiPN2rw3CutEi,@function
_Z6InputsPiPN2rw3CutEi:                 ; @_Z6InputsPiPN2rw3CutEi
; %bb.0:
	s_load_dword s0, s[4:5], 0x24
	s_load_dword s1, s[4:5], 0x10
	s_waitcnt lgkmcnt(0)
	s_and_b32 s0, s0, 0xffff
	s_mul_i32 s6, s6, s0
	v_add3_u32 v1, v0, s6, 1
	v_cmp_ge_i32_e32 vcc, s1, v1
	s_and_saveexec_b64 s[0:1], vcc
	s_cbranch_execz .LBB0_2
; %bb.1:
	s_load_dwordx2 s[0:1], s[4:5], 0x8
	v_lshlrev_b32_e32 v0, 3, v1
	s_waitcnt lgkmcnt(0)
	v_mad_i64_i32 v[2:3], s[0:1], v0, 28, s[0:1]
	global_load_dword v4, v[2:3], off offset:20
	v_mov_b32_e32 v0, 1
	global_store_byte v[2:3], v0, off offset:24
	v_lshlrev_b32_e64 v0, v1, 1
	global_store_dwordx2 v[2:3], v[0:1], off
	s_waitcnt vmcnt(2)
	v_and_b32_e32 v0, 0x80000000, v4
	v_or_b32_e32 v0, 0xbe9aaaa, v0
	global_store_dword v[2:3], v0, off offset:20
.LBB0_2:
	s_endpgm
	.section	.rodata,"a",@progbits
	.p2align	6, 0x0
	.amdhsa_kernel _Z6InputsPiPN2rw3CutEi
		.amdhsa_group_segment_fixed_size 0
		.amdhsa_private_segment_fixed_size 0
		.amdhsa_kernarg_size 280
		.amdhsa_user_sgpr_count 6
		.amdhsa_user_sgpr_private_segment_buffer 1
		.amdhsa_user_sgpr_dispatch_ptr 0
		.amdhsa_user_sgpr_queue_ptr 0
		.amdhsa_user_sgpr_kernarg_segment_ptr 1
		.amdhsa_user_sgpr_dispatch_id 0
		.amdhsa_user_sgpr_flat_scratch_init 0
		.amdhsa_user_sgpr_kernarg_preload_length 0
		.amdhsa_user_sgpr_kernarg_preload_offset 0
		.amdhsa_user_sgpr_private_segment_size 0
		.amdhsa_uses_dynamic_stack 0
		.amdhsa_system_sgpr_private_segment_wavefront_offset 0
		.amdhsa_system_sgpr_workgroup_id_x 1
		.amdhsa_system_sgpr_workgroup_id_y 0
		.amdhsa_system_sgpr_workgroup_id_z 0
		.amdhsa_system_sgpr_workgroup_info 0
		.amdhsa_system_vgpr_workitem_id 0
		.amdhsa_next_free_vgpr 5
		.amdhsa_next_free_sgpr 7
		.amdhsa_accum_offset 8
		.amdhsa_reserve_vcc 1
		.amdhsa_reserve_flat_scratch 0
		.amdhsa_float_round_mode_32 0
		.amdhsa_float_round_mode_16_64 0
		.amdhsa_float_denorm_mode_32 3
		.amdhsa_float_denorm_mode_16_64 3
		.amdhsa_dx10_clamp 1
		.amdhsa_ieee_mode 1
		.amdhsa_fp16_overflow 0
		.amdhsa_tg_split 0
		.amdhsa_exception_fp_ieee_invalid_op 0
		.amdhsa_exception_fp_denorm_src 0
		.amdhsa_exception_fp_ieee_div_zero 0
		.amdhsa_exception_fp_ieee_overflow 0
		.amdhsa_exception_fp_ieee_underflow 0
		.amdhsa_exception_fp_ieee_inexact 0
		.amdhsa_exception_int_div_zero 0
	.end_amdhsa_kernel
	.text
.Lfunc_end0:
	.size	_Z6InputsPiPN2rw3CutEi, .Lfunc_end0-_Z6InputsPiPN2rw3CutEi
                                        ; -- End function
	.section	.AMDGPU.csdata,"",@progbits
; Kernel info:
; codeLenInByte = 144
; NumSgprs: 11
; NumVgprs: 5
; NumAgprs: 0
; TotalNumVgprs: 5
; ScratchSize: 0
; MemoryBound: 0
; FloatMode: 240
; IeeeMode: 1
; LDSByteSize: 0 bytes/workgroup (compile time only)
; SGPRBlocks: 1
; VGPRBlocks: 0
; NumSGPRsForWavesPerEU: 11
; NumVGPRsForWavesPerEU: 5
; AccumOffset: 8
; Occupancy: 8
; WaveLimiterHint : 0
; COMPUTE_PGM_RSRC2:SCRATCH_EN: 0
; COMPUTE_PGM_RSRC2:USER_SGPR: 6
; COMPUTE_PGM_RSRC2:TRAP_HANDLER: 0
; COMPUTE_PGM_RSRC2:TGID_X_EN: 1
; COMPUTE_PGM_RSRC2:TGID_Y_EN: 0
; COMPUTE_PGM_RSRC2:TGID_Z_EN: 0
; COMPUTE_PGM_RSRC2:TIDIG_COMP_CNT: 0
; COMPUTE_PGM_RSRC3_GFX90A:ACCUM_OFFSET: 1
; COMPUTE_PGM_RSRC3_GFX90A:TG_SPLIT: 0
	.text
	.protected	_Z12CutEnumeratePiS_S_S_S_PN2rw3CutEii ; -- Begin function _Z12CutEnumeratePiS_S_S_S_PN2rw3CutEii
	.globl	_Z12CutEnumeratePiS_S_S_S_PN2rw3CutEii
	.p2align	8
	.type	_Z12CutEnumeratePiS_S_S_S_PN2rw3CutEii,@function
_Z12CutEnumeratePiS_S_S_S_PN2rw3CutEii: ; @_Z12CutEnumeratePiS_S_S_S_PN2rw3CutEii
; %bb.0:
	s_load_dword s8, s[6:7], 0x44
	s_load_dwordx2 s[20:21], s[6:7], 0x30
	s_add_u32 s0, s0, s11
	s_addc_u32 s1, s1, 0
	v_and_b32_e32 v1, 0x3ff, v0
	s_waitcnt lgkmcnt(0)
	s_and_b32 s8, s8, 0xffff
	s_mul_i32 s10, s10, s8
	v_add_u32_e32 v2, s10, v1
	s_mov_b32 s33, 0xffff
	v_cmp_gt_i32_e32 vcc, s21, v2
	s_and_saveexec_b64 s[8:9], vcc
	s_cbranch_execz .LBB1_535
; %bb.1:
	s_load_dwordx4 s[16:19], s[6:7], 0x20
	v_add3_u32 v5, s20, 1, v2
	v_lshlrev_b32_e32 v3, 3, v5
	v_mov_b32_e32 v30, 1
	v_lshlrev_b32_e64 v4, v5, 1
	s_waitcnt lgkmcnt(0)
	v_mad_i64_i32 v[12:13], s[8:9], v3, 28, s[18:19]
	global_load_dword v8, v[12:13], off offset:20
	s_load_dwordx8 s[8:15], s[6:7], 0x0
	s_ashr_i32 s6, s20, 31
	v_ashrrev_i32_e32 v3, 31, v2
	v_mov_b32_e32 v6, s6
	v_add_co_u32_e32 v2, vcc, s20, v2
	v_addc_co_u32_e32 v3, vcc, v6, v3, vcc
	v_lshlrev_b64 v[2:3], 2, v[2:3]
	s_waitcnt lgkmcnt(0)
	v_mov_b32_e32 v6, s9
	global_store_byte v[12:13], v30, off offset:24
	global_store_dwordx2 v[12:13], v[4:5], off
	v_add_co_u32_e32 v4, vcc, s8, v2
	v_addc_co_u32_e32 v5, vcc, v6, v3, vcc
	v_mov_b32_e32 v7, s11
	v_add_co_u32_e32 v6, vcc, s10, v2
	v_addc_co_u32_e32 v7, vcc, v7, v3, vcc
	s_load_dwordx2 s[4:5], s[4:5], 0x4
	v_add_co_u32_e32 v14, vcc, 24, v12
	v_addc_co_u32_e32 v15, vcc, 0, v13, vcc
	s_waitcnt lgkmcnt(0)
	s_lshr_b32 s4, s4, 16
	v_add_co_u32_e32 v16, vcc, 20, v12
	s_mul_i32 s4, s4, s5
	v_addc_co_u32_e32 v17, vcc, 0, v13, vcc
	v_add_co_u32_e32 v18, vcc, s12, v2
	v_mul_lo_u32 v1, s4, v1
	v_mov_b32_e32 v10, 0
	v_mov_b32_e32 v11, 28
	s_mov_b32 s72, 0
	s_mov_b64 s[20:21], 0
	s_brev_b32 s73, 8
	s_mov_b32 s74, 0x10000001
	s_mov_b32 s75, 0x87ffffff
	v_mov_b32_e32 v32, 0
	s_mov_b32 s76, 0xf800ffff
	v_add_u32_e32 v37, 4, v10
	v_add_u32_e32 v38, 4, v11
	;; [unrolled: 1-line block ×7, first 2 shown]
	v_mov_b32_e32 v50, 0x3e90000
	s_waitcnt vmcnt(2)
	v_and_b32_e32 v8, 0x80000000, v8
	v_or_b32_e32 v8, 0xbe9aaaa, v8
	global_store_dword v[12:13], v8, off offset:20
	global_load_dword v8, v[4:5], off offset:4
	s_nop 0
	global_load_dword v9, v[6:7], off offset:4
	v_bfe_u32 v4, v0, 10, 10
	v_mov_b32_e32 v5, 0x70
	v_bfe_u32 v0, v0, 20, 10
	v_add_u32_e32 v34, 4, v5
	v_mul_u32_u24_e32 v4, s5, v4
	v_mov_b32_e32 v5, s13
	v_mov_b32_e32 v6, 56
	v_addc_co_u32_e32 v19, vcc, v5, v3, vcc
	v_add3_u32 v0, v1, v4, v0
	v_mov_b32_e32 v7, 0x54
	v_add_u32_e32 v35, 4, v6
	v_mov_b32_e32 v6, s15
	v_add_co_u32_e32 v20, vcc, s14, v2
	v_mul_lo_u32 v1, v0, 28
	v_add_u32_e32 v36, 4, v7
	v_addc_co_u32_e32 v21, vcc, v6, v3, vcc
	v_lshl_add_u32 v44, v0, 1, v0
	v_add_u32_e32 v45, 0xc00, v1
	v_add_u32_e32 v46, 0xc19, v1
	;; [unrolled: 1-line block ×3, first 2 shown]
	s_waitcnt vmcnt(1)
	v_lshlrev_b32_e32 v48, 3, v8
	s_waitcnt vmcnt(0)
	v_lshlrev_b32_e32 v49, 3, v9
	s_branch .LBB1_3
.LBB1_2:                                ;   in Loop: Header=BB1_3 Depth=1
	s_or_b64 exec, exec, s[8:9]
	s_and_b64 s[4:5], exec, s[6:7]
	s_or_b64 s[20:21], s[4:5], s[20:21]
	s_andn2_b64 exec, exec, s[20:21]
	s_cbranch_execz .LBB1_535
.LBB1_3:                                ; =>This Loop Header: Depth=1
                                        ;     Child Loop BB1_6 Depth 2
                                        ;       Child Loop BB1_297 Depth 3
                                        ;         Child Loop BB1_304 Depth 4
                                        ;           Child Loop BB1_306 Depth 5
                                        ;         Child Loop BB1_318 Depth 4
                                        ;           Child Loop BB1_320 Depth 5
                                        ;       Child Loop BB1_338 Depth 3
                                        ;         Child Loop BB1_340 Depth 4
                                        ;       Child Loop BB1_348 Depth 3
                                        ;       Child Loop BB1_364 Depth 3
	;; [unrolled: 1-line block ×4, first 2 shown]
                                        ;         Child Loop BB1_390 Depth 4
                                        ;       Child Loop BB1_398 Depth 3
                                        ;       Child Loop BB1_414 Depth 3
	;; [unrolled: 1-line block ×8, first 2 shown]
                                        ;         Child Loop BB1_489 Depth 4
                                        ;           Child Loop BB1_491 Depth 5
                                        ;         Child Loop BB1_503 Depth 4
                                        ;           Child Loop BB1_505 Depth 5
                                        ;       Child Loop BB1_522 Depth 3
	v_add_u32_e32 v0, s72, v48
	v_mad_i64_i32 v[22:23], s[4:5], v0, 28, s[18:19]
	global_load_ubyte v0, v[22:23], off offset:24
	s_mov_b64 s[4:5], -1
	s_waitcnt vmcnt(0)
	v_and_b32_e32 v0, 1, v0
	v_cmp_eq_u32_e32 vcc, 1, v0
	s_and_saveexec_b64 s[12:13], vcc
	s_cbranch_execz .LBB1_533
; %bb.4:                                ;   in Loop: Header=BB1_3 Depth=1
	s_mov_b32 s77, 0
	s_mov_b64 s[14:15], 0
                                        ; implicit-def: $sgpr22_sgpr23
	s_branch .LBB1_6
.LBB1_5:                                ;   in Loop: Header=BB1_6 Depth=2
	s_or_b64 exec, exec, s[8:9]
	s_xor_b64 s[4:5], s[4:5], -1
	s_and_b64 s[6:7], exec, s[24:25]
	s_or_b64 s[14:15], s[6:7], s[14:15]
	s_andn2_b64 s[6:7], s[22:23], exec
	s_and_b64 s[4:5], s[4:5], exec
	s_or_b64 s[22:23], s[6:7], s[4:5]
	s_andn2_b64 exec, exec, s[14:15]
	s_cbranch_execz .LBB1_532
.LBB1_6:                                ;   Parent Loop BB1_3 Depth=1
                                        ; =>  This Loop Header: Depth=2
                                        ;       Child Loop BB1_297 Depth 3
                                        ;         Child Loop BB1_304 Depth 4
                                        ;           Child Loop BB1_306 Depth 5
                                        ;         Child Loop BB1_318 Depth 4
                                        ;           Child Loop BB1_320 Depth 5
                                        ;       Child Loop BB1_338 Depth 3
                                        ;         Child Loop BB1_340 Depth 4
                                        ;       Child Loop BB1_348 Depth 3
                                        ;       Child Loop BB1_364 Depth 3
	;; [unrolled: 1-line block ×4, first 2 shown]
                                        ;         Child Loop BB1_390 Depth 4
                                        ;       Child Loop BB1_398 Depth 3
                                        ;       Child Loop BB1_414 Depth 3
	;; [unrolled: 1-line block ×8, first 2 shown]
                                        ;         Child Loop BB1_489 Depth 4
                                        ;           Child Loop BB1_491 Depth 5
                                        ;         Child Loop BB1_503 Depth 4
                                        ;           Child Loop BB1_505 Depth 5
                                        ;       Child Loop BB1_522 Depth 3
	v_add_u32_e32 v0, s77, v49
	v_mad_i64_i32 v[8:9], s[4:5], v0, 28, s[18:19]
	global_load_ubyte v52, v[8:9], off offset:24
	s_mov_b64 s[24:25], -1
	s_mov_b64 s[6:7], -1
                                        ; implicit-def: $sgpr4_sgpr5
	s_waitcnt vmcnt(0)
	v_and_b32_e32 v0, 1, v52
	v_cmp_eq_u32_e32 vcc, 1, v0
	s_and_saveexec_b64 s[26:27], vcc
	s_cbranch_execz .LBB1_530
; %bb.7:                                ;   in Loop: Header=BB1_6 Depth=2
	global_load_dwordx4 v[4:7], v[22:23], off
	global_load_ushort v10, v[8:9], off offset:25
	global_load_ubyte v11, v[8:9], off offset:27
	global_load_dwordx4 v[0:3], v[8:9], off
	global_load_dwordx2 v[28:29], v[22:23], off offset:16
	global_load_dwordx2 v[26:27], v[8:9], off offset:16
	s_waitcnt vmcnt(4)
	ds_write_b16 v44, v10
	s_waitcnt vmcnt(3)
	ds_write_b8 v44, v11 offset:2
	s_waitcnt vmcnt(2)
	v_or_b32_e32 v10, v0, v4
	v_lshrrev_b32_e32 v9, 1, v10
	v_and_b32_e32 v8, 0x55555555, v10
	v_and_b32_e32 v9, 0x55555555, v9
	v_add_u32_e32 v8, v9, v8
	v_and_b32_e32 v9, 0x33333333, v8
	v_lshrrev_b32_e32 v8, 2, v8
	v_and_b32_e32 v8, 0x33333333, v8
	v_add_u32_e32 v8, v8, v9
	v_and_b32_e32 v9, 0x7070707, v8
	v_lshrrev_b32_e32 v8, 4, v8
	v_and_b32_e32 v8, 0x7070707, v8
	v_add_u32_e32 v8, v8, v9
	v_and_b32_e32 v9, 0xf000f, v8
	v_lshrrev_b32_e32 v8, 8, v8
	v_and_b32_e32 v8, 0xf000f, v8
	v_add_u32_e32 v8, v8, v9
	v_and_b32_e32 v9, 31, v8
	v_add_u32_sdwa v8, v9, v8 dst_sel:DWORD dst_unused:UNUSED_PAD src0_sel:DWORD src1_sel:WORD_1
	v_cmp_gt_u32_e32 vcc, 5, v8
	v_mov_b32_e32 v8, 7
	s_and_saveexec_b64 s[28:29], vcc
	s_cbranch_execz .LBB1_527
; %bb.8:                                ;   in Loop: Header=BB1_6 Depth=2
	global_load_ubyte v8, v[14:15], off
	global_load_ubyte v53, v[22:23], off offset:24
	v_mov_b32_e32 v51, 0
	s_waitcnt vmcnt(1)
	v_cmp_ne_u16_e32 vcc, 0, v8
	s_and_saveexec_b64 s[6:7], vcc
	s_cbranch_execz .LBB1_154
; %bb.9:                                ;   in Loop: Header=BB1_6 Depth=2
	global_load_ubyte v8, v[14:15], off offset:28
	v_mov_b32_e32 v51, 1
	s_waitcnt vmcnt(0)
	v_cmp_ne_u16_e32 vcc, 0, v8
	s_and_saveexec_b64 s[8:9], vcc
	s_cbranch_execz .LBB1_153
; %bb.10:                               ;   in Loop: Header=BB1_6 Depth=2
	global_load_ubyte v8, v[14:15], off offset:56
	v_mov_b32_e32 v51, 2
	s_waitcnt vmcnt(0)
	v_cmp_ne_u16_e32 vcc, 0, v8
	s_and_saveexec_b64 s[10:11], vcc
	s_cbranch_execz .LBB1_152
; %bb.11:                               ;   in Loop: Header=BB1_6 Depth=2
	;; [unrolled: 7-line block ×7, first 2 shown]
	global_load_dword v54, v[16:17], off
	global_load_dword v8, v[16:17], off offset:28
	s_waitcnt vmcnt(1)
	v_and_b32_e32 v56, 0x78000000, v54
	s_waitcnt vmcnt(0)
	v_and_b32_e32 v55, 0x78000000, v8
	v_cmp_gt_u32_e64 s[44:45], s74, v56
	v_cmp_lt_u32_e32 vcc, s73, v56
	v_cndmask_b32_e64 v51, 0, -1, s[44:45]
	v_cmp_lt_u32_e64 s[4:5], s73, v55
	s_and_saveexec_b64 s[42:43], s[4:5]
	s_cbranch_execz .LBB1_22
; %bb.17:                               ;   in Loop: Header=BB1_6 Depth=2
                                        ; implicit-def: $sgpr46
	s_and_saveexec_b64 s[4:5], vcc
	s_cbranch_execz .LBB1_19
; %bb.18:                               ;   in Loop: Header=BB1_6 Depth=2
	v_mul_hi_i32_i24_e32 v25, 7, v51
	v_mul_i32_i24_e32 v24, 7, v51
	v_lshlrev_b64 v[24:25], 2, v[24:25]
	v_add_co_u32_e32 v24, vcc, v16, v24
	v_addc_co_u32_e32 v25, vcc, v17, v25, vcc
	global_load_dword v9, v[24:25], off
	v_bfe_u32 v11, v8, 16, 11
	s_andn2_b64 s[44:45], s[44:45], exec
	s_mov_b32 s46, 0
	s_waitcnt vmcnt(0)
	v_bfe_u32 v9, v9, 16, 11
	v_cmp_lt_u32_e32 vcc, v11, v9
	s_and_b64 s[48:49], vcc, exec
	s_or_b64 s[44:45], s[44:45], s[48:49]
.LBB1_19:                               ;   in Loop: Header=BB1_6 Depth=2
	s_or_b64 exec, exec, s[4:5]
	v_mov_b32_e32 v51, s46
	s_and_saveexec_b64 s[4:5], s[44:45]
; %bb.20:                               ;   in Loop: Header=BB1_6 Depth=2
	v_mov_b32_e32 v51, 1
; %bb.21:                               ;   in Loop: Header=BB1_6 Depth=2
	s_or_b64 exec, exec, s[4:5]
.LBB1_22:                               ;   in Loop: Header=BB1_6 Depth=2
	s_or_b64 exec, exec, s[42:43]
	global_load_dword v9, v[16:17], off offset:56
	s_waitcnt vmcnt(0)
	v_and_b32_e32 v57, 0x78000000, v9
	v_cmp_lt_u32_e32 vcc, s73, v57
	s_and_saveexec_b64 s[4:5], vcc
	s_cbranch_execz .LBB1_28
; %bb.23:                               ;   in Loop: Header=BB1_6 Depth=2
	v_cmp_eq_u32_e64 s[42:43], -1, v51
	v_cmp_ne_u32_e32 vcc, -1, v51
	s_and_saveexec_b64 s[44:45], vcc
	s_cbranch_execz .LBB1_25
; %bb.24:                               ;   in Loop: Header=BB1_6 Depth=2
	v_mul_hi_i32_i24_e32 v25, 7, v51
	v_mul_i32_i24_e32 v24, 7, v51
	v_lshlrev_b64 v[24:25], 2, v[24:25]
	v_add_co_u32_e32 v24, vcc, v16, v24
	v_addc_co_u32_e32 v25, vcc, v17, v25, vcc
	global_load_dword v11, v[24:25], off
	v_bfe_u32 v24, v9, 16, 11
	s_andn2_b64 s[42:43], s[42:43], exec
	s_waitcnt vmcnt(0)
	v_bfe_u32 v11, v11, 16, 11
	v_cmp_lt_u32_e32 vcc, v24, v11
	s_and_b64 s[46:47], vcc, exec
	s_or_b64 s[42:43], s[42:43], s[46:47]
.LBB1_25:                               ;   in Loop: Header=BB1_6 Depth=2
	s_or_b64 exec, exec, s[44:45]
	s_and_saveexec_b64 s[44:45], s[42:43]
; %bb.26:                               ;   in Loop: Header=BB1_6 Depth=2
	v_mov_b32_e32 v51, 2
; %bb.27:                               ;   in Loop: Header=BB1_6 Depth=2
	s_or_b64 exec, exec, s[44:45]
.LBB1_28:                               ;   in Loop: Header=BB1_6 Depth=2
	s_or_b64 exec, exec, s[4:5]
	global_load_dword v11, v[16:17], off offset:84
	s_waitcnt vmcnt(0)
	v_and_b32_e32 v58, 0x78000000, v11
	v_cmp_lt_u32_e32 vcc, s73, v58
	s_and_saveexec_b64 s[4:5], vcc
	s_cbranch_execz .LBB1_34
; %bb.29:                               ;   in Loop: Header=BB1_6 Depth=2
	v_cmp_eq_u32_e64 s[42:43], -1, v51
	v_cmp_ne_u32_e32 vcc, -1, v51
	s_and_saveexec_b64 s[44:45], vcc
	s_cbranch_execz .LBB1_31
; %bb.30:                               ;   in Loop: Header=BB1_6 Depth=2
	v_mul_hi_i32_i24_e32 v25, 7, v51
	v_mul_i32_i24_e32 v24, 7, v51
	v_lshlrev_b64 v[24:25], 2, v[24:25]
	v_add_co_u32_e32 v24, vcc, v16, v24
	v_addc_co_u32_e32 v25, vcc, v17, v25, vcc
	global_load_dword v24, v[24:25], off
	v_bfe_u32 v25, v11, 16, 11
	s_andn2_b64 s[42:43], s[42:43], exec
	s_waitcnt vmcnt(0)
	v_bfe_u32 v24, v24, 16, 11
	v_cmp_lt_u32_e32 vcc, v25, v24
	s_and_b64 s[46:47], vcc, exec
	s_or_b64 s[42:43], s[42:43], s[46:47]
.LBB1_31:                               ;   in Loop: Header=BB1_6 Depth=2
	s_or_b64 exec, exec, s[44:45]
	s_and_saveexec_b64 s[44:45], s[42:43]
; %bb.32:                               ;   in Loop: Header=BB1_6 Depth=2
	v_mov_b32_e32 v51, 3
; %bb.33:                               ;   in Loop: Header=BB1_6 Depth=2
	s_or_b64 exec, exec, s[44:45]
.LBB1_34:                               ;   in Loop: Header=BB1_6 Depth=2
	;; [unrolled: 34-line block ×4, first 2 shown]
	s_or_b64 exec, exec, s[4:5]
	global_load_dword v31, v[16:17], off offset:168
	s_waitcnt vmcnt(0)
	v_and_b32_e32 v61, 0x78000000, v31
	v_cmp_lt_u32_e32 vcc, s73, v61
	s_and_saveexec_b64 s[4:5], vcc
	s_cbranch_execz .LBB1_52
; %bb.47:                               ;   in Loop: Header=BB1_6 Depth=2
	v_cmp_eq_u32_e64 s[42:43], -1, v51
	v_cmp_ne_u32_e32 vcc, -1, v51
	s_and_saveexec_b64 s[44:45], vcc
	s_cbranch_execz .LBB1_49
; %bb.48:                               ;   in Loop: Header=BB1_6 Depth=2
	v_mad_i64_i32 v[62:63], s[46:47], v51, 28, v[16:17]
	global_load_dword v33, v[62:63], off
	v_bfe_u32 v62, v31, 16, 11
	s_andn2_b64 s[42:43], s[42:43], exec
	s_waitcnt vmcnt(0)
	v_bfe_u32 v33, v33, 16, 11
	v_cmp_lt_u32_e32 vcc, v62, v33
	s_and_b64 s[46:47], vcc, exec
	s_or_b64 s[42:43], s[42:43], s[46:47]
.LBB1_49:                               ;   in Loop: Header=BB1_6 Depth=2
	s_or_b64 exec, exec, s[44:45]
	s_and_saveexec_b64 s[44:45], s[42:43]
; %bb.50:                               ;   in Loop: Header=BB1_6 Depth=2
	v_mov_b32_e32 v51, 6
; %bb.51:                               ;   in Loop: Header=BB1_6 Depth=2
	s_or_b64 exec, exec, s[44:45]
.LBB1_52:                               ;   in Loop: Header=BB1_6 Depth=2
	s_or_b64 exec, exec, s[4:5]
	global_load_dword v33, v[16:17], off offset:196
	s_waitcnt vmcnt(0)
	v_and_b32_e32 v62, 0x78000000, v33
	v_cmp_lt_u32_e32 vcc, s73, v62
	s_and_saveexec_b64 s[4:5], vcc
	s_cbranch_execz .LBB1_59
; %bb.53:                               ;   in Loop: Header=BB1_6 Depth=2
	v_cmp_eq_u32_e64 s[42:43], -1, v51
	v_cmp_ne_u32_e32 vcc, -1, v51
	s_and_saveexec_b64 s[44:45], vcc
	s_cbranch_execz .LBB1_55
; %bb.54:                               ;   in Loop: Header=BB1_6 Depth=2
	v_mad_i64_i32 v[64:65], s[46:47], v51, 28, v[16:17]
	global_load_dword v63, v[64:65], off
	v_bfe_u32 v64, v33, 16, 11
	s_andn2_b64 s[42:43], s[42:43], exec
	s_waitcnt vmcnt(0)
	v_bfe_u32 v63, v63, 16, 11
	v_cmp_lt_u32_e32 vcc, v64, v63
	s_and_b64 s[46:47], vcc, exec
	s_or_b64 s[42:43], s[42:43], s[46:47]
.LBB1_55:                               ;   in Loop: Header=BB1_6 Depth=2
	s_or_b64 exec, exec, s[44:45]
	s_and_saveexec_b64 s[44:45], s[42:43]
; %bb.56:                               ;   in Loop: Header=BB1_6 Depth=2
	v_mov_b32_e32 v51, 7
; %bb.57:                               ;   in Loop: Header=BB1_6 Depth=2
	s_or_b64 exec, exec, s[44:45]
	s_or_b64 exec, exec, s[4:5]
	v_cmp_eq_u32_e32 vcc, -1, v51
	s_and_saveexec_b64 s[42:43], vcc
	s_cbranch_execnz .LBB1_60
.LBB1_58:                               ;   in Loop: Header=BB1_6 Depth=2
	s_or_b64 exec, exec, s[42:43]
	v_cmp_eq_u32_e32 vcc, -1, v51
	s_and_saveexec_b64 s[42:43], vcc
	s_cbranch_execnz .LBB1_103
	s_branch .LBB1_146
.LBB1_59:                               ;   in Loop: Header=BB1_6 Depth=2
	s_or_b64 exec, exec, s[4:5]
	v_cmp_eq_u32_e32 vcc, -1, v51
	s_and_saveexec_b64 s[42:43], vcc
	s_cbranch_execz .LBB1_58
.LBB1_60:                               ;   in Loop: Header=BB1_6 Depth=2
	v_cmp_ne_u32_e64 s[46:47], s73, v56
	v_cmp_eq_u32_e32 vcc, s73, v56
	v_cndmask_b32_e64 v51, 0, -1, s[46:47]
	v_cmp_eq_u32_e64 s[4:5], s73, v55
	s_and_saveexec_b64 s[44:45], s[4:5]
	s_cbranch_execz .LBB1_79
; %bb.61:                               ;   in Loop: Header=BB1_6 Depth=2
                                        ; implicit-def: $sgpr48
	s_and_saveexec_b64 s[4:5], vcc
	s_cbranch_execz .LBB1_63
; %bb.62:                               ;   in Loop: Header=BB1_6 Depth=2
	v_mul_hi_i32_i24_e32 v65, 7, v51
	v_mul_i32_i24_e32 v64, 7, v51
	v_lshlrev_b64 v[64:65], 2, v[64:65]
	v_add_co_u32_e32 v64, vcc, v16, v64
	v_addc_co_u32_e32 v65, vcc, v17, v65, vcc
	global_load_dword v51, v[64:65], off
	v_bfe_u32 v55, v8, 16, 11
	s_andn2_b64 s[46:47], s[46:47], exec
	s_mov_b32 s48, 0
	s_waitcnt vmcnt(0)
	v_bfe_u32 v51, v51, 16, 11
	v_cmp_lt_u32_e32 vcc, v55, v51
	s_and_b64 s[50:51], vcc, exec
	s_or_b64 s[46:47], s[46:47], s[50:51]
.LBB1_63:                               ;   in Loop: Header=BB1_6 Depth=2
	s_or_b64 exec, exec, s[4:5]
	v_mov_b32_e32 v51, s48
	s_and_saveexec_b64 s[4:5], s[46:47]
; %bb.64:                               ;   in Loop: Header=BB1_6 Depth=2
	v_mov_b32_e32 v51, 1
; %bb.65:                               ;   in Loop: Header=BB1_6 Depth=2
	s_or_b64 exec, exec, s[4:5]
	s_or_b64 exec, exec, s[44:45]
	v_cmp_eq_u32_e32 vcc, s73, v57
	s_and_saveexec_b64 s[4:5], vcc
	s_cbranch_execnz .LBB1_80
.LBB1_66:                               ;   in Loop: Header=BB1_6 Depth=2
	s_or_b64 exec, exec, s[4:5]
	v_cmp_eq_u32_e32 vcc, s73, v58
	s_and_saveexec_b64 s[4:5], vcc
	s_cbranch_execz .LBB1_85
.LBB1_67:                               ;   in Loop: Header=BB1_6 Depth=2
	v_cmp_eq_u32_e64 s[44:45], -1, v51
	v_cmp_ne_u32_e32 vcc, -1, v51
	s_and_saveexec_b64 s[46:47], vcc
	s_cbranch_execz .LBB1_69
; %bb.68:                               ;   in Loop: Header=BB1_6 Depth=2
	v_mul_hi_i32_i24_e32 v57, 7, v51
	v_mul_i32_i24_e32 v56, 7, v51
	v_lshlrev_b64 v[56:57], 2, v[56:57]
	v_add_co_u32_e32 v56, vcc, v16, v56
	v_addc_co_u32_e32 v57, vcc, v17, v57, vcc
	global_load_dword v55, v[56:57], off
	v_bfe_u32 v56, v11, 16, 11
	s_andn2_b64 s[44:45], s[44:45], exec
	s_waitcnt vmcnt(0)
	v_bfe_u32 v55, v55, 16, 11
	v_cmp_lt_u32_e32 vcc, v56, v55
	s_and_b64 s[48:49], vcc, exec
	s_or_b64 s[44:45], s[44:45], s[48:49]
.LBB1_69:                               ;   in Loop: Header=BB1_6 Depth=2
	s_or_b64 exec, exec, s[46:47]
	s_and_saveexec_b64 s[46:47], s[44:45]
; %bb.70:                               ;   in Loop: Header=BB1_6 Depth=2
	v_mov_b32_e32 v51, 3
; %bb.71:                               ;   in Loop: Header=BB1_6 Depth=2
	s_or_b64 exec, exec, s[46:47]
	s_or_b64 exec, exec, s[4:5]
	v_cmp_eq_u32_e32 vcc, s73, v59
	s_and_saveexec_b64 s[4:5], vcc
	s_cbranch_execnz .LBB1_86
.LBB1_72:                               ;   in Loop: Header=BB1_6 Depth=2
	s_or_b64 exec, exec, s[4:5]
	v_cmp_eq_u32_e32 vcc, s73, v60
	s_and_saveexec_b64 s[4:5], vcc
	s_cbranch_execz .LBB1_91
.LBB1_73:                               ;   in Loop: Header=BB1_6 Depth=2
	v_cmp_eq_u32_e64 s[44:45], -1, v51
	v_cmp_ne_u32_e32 vcc, -1, v51
	s_and_saveexec_b64 s[46:47], vcc
	s_cbranch_execz .LBB1_75
; %bb.74:                               ;   in Loop: Header=BB1_6 Depth=2
	v_mul_hi_i32_i24_e32 v57, 7, v51
	v_mul_i32_i24_e32 v56, 7, v51
	v_lshlrev_b64 v[56:57], 2, v[56:57]
	v_add_co_u32_e32 v56, vcc, v16, v56
	v_addc_co_u32_e32 v57, vcc, v17, v57, vcc
	global_load_dword v55, v[56:57], off
	v_bfe_u32 v56, v25, 16, 11
	s_andn2_b64 s[44:45], s[44:45], exec
	s_waitcnt vmcnt(0)
	v_bfe_u32 v55, v55, 16, 11
	v_cmp_lt_u32_e32 vcc, v56, v55
	s_and_b64 s[48:49], vcc, exec
	s_or_b64 s[44:45], s[44:45], s[48:49]
.LBB1_75:                               ;   in Loop: Header=BB1_6 Depth=2
	s_or_b64 exec, exec, s[46:47]
	s_and_saveexec_b64 s[46:47], s[44:45]
; %bb.76:                               ;   in Loop: Header=BB1_6 Depth=2
	v_mov_b32_e32 v51, 5
; %bb.77:                               ;   in Loop: Header=BB1_6 Depth=2
	s_or_b64 exec, exec, s[46:47]
	s_or_b64 exec, exec, s[4:5]
	v_cmp_eq_u32_e32 vcc, s73, v61
	s_and_saveexec_b64 s[4:5], vcc
	s_cbranch_execnz .LBB1_92
.LBB1_78:                               ;   in Loop: Header=BB1_6 Depth=2
	s_or_b64 exec, exec, s[4:5]
	v_cmp_eq_u32_e32 vcc, s73, v62
	s_and_saveexec_b64 s[4:5], vcc
	s_cbranch_execnz .LBB1_97
	s_branch .LBB1_102
.LBB1_79:                               ;   in Loop: Header=BB1_6 Depth=2
	s_or_b64 exec, exec, s[44:45]
	v_cmp_eq_u32_e32 vcc, s73, v57
	s_and_saveexec_b64 s[4:5], vcc
	s_cbranch_execz .LBB1_66
.LBB1_80:                               ;   in Loop: Header=BB1_6 Depth=2
	v_cmp_eq_u32_e64 s[44:45], -1, v51
	v_cmp_ne_u32_e32 vcc, -1, v51
	s_and_saveexec_b64 s[46:47], vcc
	s_cbranch_execz .LBB1_82
; %bb.81:                               ;   in Loop: Header=BB1_6 Depth=2
	v_mul_hi_i32_i24_e32 v57, 7, v51
	v_mul_i32_i24_e32 v56, 7, v51
	v_lshlrev_b64 v[56:57], 2, v[56:57]
	v_add_co_u32_e32 v56, vcc, v16, v56
	v_addc_co_u32_e32 v57, vcc, v17, v57, vcc
	global_load_dword v55, v[56:57], off
	v_bfe_u32 v56, v9, 16, 11
	s_andn2_b64 s[44:45], s[44:45], exec
	s_waitcnt vmcnt(0)
	v_bfe_u32 v55, v55, 16, 11
	v_cmp_lt_u32_e32 vcc, v56, v55
	s_and_b64 s[48:49], vcc, exec
	s_or_b64 s[44:45], s[44:45], s[48:49]
.LBB1_82:                               ;   in Loop: Header=BB1_6 Depth=2
	s_or_b64 exec, exec, s[46:47]
	s_and_saveexec_b64 s[46:47], s[44:45]
; %bb.83:                               ;   in Loop: Header=BB1_6 Depth=2
	v_mov_b32_e32 v51, 2
; %bb.84:                               ;   in Loop: Header=BB1_6 Depth=2
	s_or_b64 exec, exec, s[46:47]
	s_or_b64 exec, exec, s[4:5]
	v_cmp_eq_u32_e32 vcc, s73, v58
	s_and_saveexec_b64 s[4:5], vcc
	s_cbranch_execnz .LBB1_67
.LBB1_85:                               ;   in Loop: Header=BB1_6 Depth=2
	s_or_b64 exec, exec, s[4:5]
	v_cmp_eq_u32_e32 vcc, s73, v59
	s_and_saveexec_b64 s[4:5], vcc
	s_cbranch_execz .LBB1_72
.LBB1_86:                               ;   in Loop: Header=BB1_6 Depth=2
	v_cmp_eq_u32_e64 s[44:45], -1, v51
	v_cmp_ne_u32_e32 vcc, -1, v51
	s_and_saveexec_b64 s[46:47], vcc
	s_cbranch_execz .LBB1_88
; %bb.87:                               ;   in Loop: Header=BB1_6 Depth=2
	v_mul_hi_i32_i24_e32 v57, 7, v51
	v_mul_i32_i24_e32 v56, 7, v51
	v_lshlrev_b64 v[56:57], 2, v[56:57]
	v_add_co_u32_e32 v56, vcc, v16, v56
	v_addc_co_u32_e32 v57, vcc, v17, v57, vcc
	global_load_dword v55, v[56:57], off
	v_bfe_u32 v56, v24, 16, 11
	s_andn2_b64 s[44:45], s[44:45], exec
	s_waitcnt vmcnt(0)
	v_bfe_u32 v55, v55, 16, 11
	v_cmp_lt_u32_e32 vcc, v56, v55
	s_and_b64 s[48:49], vcc, exec
	s_or_b64 s[44:45], s[44:45], s[48:49]
.LBB1_88:                               ;   in Loop: Header=BB1_6 Depth=2
	s_or_b64 exec, exec, s[46:47]
	s_and_saveexec_b64 s[46:47], s[44:45]
; %bb.89:                               ;   in Loop: Header=BB1_6 Depth=2
	v_mov_b32_e32 v51, 4
; %bb.90:                               ;   in Loop: Header=BB1_6 Depth=2
	s_or_b64 exec, exec, s[46:47]
	s_or_b64 exec, exec, s[4:5]
	v_cmp_eq_u32_e32 vcc, s73, v60
	s_and_saveexec_b64 s[4:5], vcc
	s_cbranch_execnz .LBB1_73
.LBB1_91:                               ;   in Loop: Header=BB1_6 Depth=2
	s_or_b64 exec, exec, s[4:5]
	v_cmp_eq_u32_e32 vcc, s73, v61
	s_and_saveexec_b64 s[4:5], vcc
	s_cbranch_execz .LBB1_78
.LBB1_92:                               ;   in Loop: Header=BB1_6 Depth=2
	v_cmp_eq_u32_e64 s[44:45], -1, v51
	v_cmp_ne_u32_e32 vcc, -1, v51
	s_and_saveexec_b64 s[46:47], vcc
	s_cbranch_execz .LBB1_94
; %bb.93:                               ;   in Loop: Header=BB1_6 Depth=2
	v_mad_i64_i32 v[56:57], s[48:49], v51, 28, v[16:17]
	global_load_dword v55, v[56:57], off
	v_bfe_u32 v56, v31, 16, 11
	s_andn2_b64 s[44:45], s[44:45], exec
	s_waitcnt vmcnt(0)
	v_bfe_u32 v55, v55, 16, 11
	v_cmp_lt_u32_e32 vcc, v56, v55
	s_and_b64 s[48:49], vcc, exec
	s_or_b64 s[44:45], s[44:45], s[48:49]
.LBB1_94:                               ;   in Loop: Header=BB1_6 Depth=2
	s_or_b64 exec, exec, s[46:47]
	s_and_saveexec_b64 s[46:47], s[44:45]
; %bb.95:                               ;   in Loop: Header=BB1_6 Depth=2
	v_mov_b32_e32 v51, 6
; %bb.96:                               ;   in Loop: Header=BB1_6 Depth=2
	s_or_b64 exec, exec, s[46:47]
	s_or_b64 exec, exec, s[4:5]
	v_cmp_eq_u32_e32 vcc, s73, v62
	s_and_saveexec_b64 s[4:5], vcc
	s_cbranch_execz .LBB1_102
.LBB1_97:                               ;   in Loop: Header=BB1_6 Depth=2
	v_cmp_eq_u32_e64 s[44:45], -1, v51
	v_cmp_ne_u32_e32 vcc, -1, v51
	s_and_saveexec_b64 s[46:47], vcc
	s_cbranch_execz .LBB1_99
; %bb.98:                               ;   in Loop: Header=BB1_6 Depth=2
	v_mad_i64_i32 v[56:57], s[48:49], v51, 28, v[16:17]
	global_load_dword v55, v[56:57], off
	v_bfe_u32 v56, v33, 16, 11
	s_andn2_b64 s[44:45], s[44:45], exec
	s_waitcnt vmcnt(0)
	v_bfe_u32 v55, v55, 16, 11
	v_cmp_lt_u32_e32 vcc, v56, v55
	s_and_b64 s[48:49], vcc, exec
	s_or_b64 s[44:45], s[44:45], s[48:49]
.LBB1_99:                               ;   in Loop: Header=BB1_6 Depth=2
	s_or_b64 exec, exec, s[46:47]
	s_and_saveexec_b64 s[46:47], s[44:45]
; %bb.100:                              ;   in Loop: Header=BB1_6 Depth=2
	v_mov_b32_e32 v51, 7
; %bb.101:                              ;   in Loop: Header=BB1_6 Depth=2
	s_or_b64 exec, exec, s[46:47]
.LBB1_102:                              ;   in Loop: Header=BB1_6 Depth=2
	s_or_b64 exec, exec, s[4:5]
	s_or_b64 exec, exec, s[42:43]
	v_cmp_eq_u32_e32 vcc, -1, v51
	s_and_saveexec_b64 s[42:43], vcc
	s_cbranch_execz .LBB1_146
.LBB1_103:                              ;   in Loop: Header=BB1_6 Depth=2
	v_and_b32_e32 v51, 0x70000000, v54
	v_cmp_ne_u32_e64 s[46:47], 0, v51
	v_and_b32_e32 v54, 0x70000000, v8
	v_cmp_eq_u32_e32 vcc, 0, v51
	v_cndmask_b32_e64 v51, 0, -1, s[46:47]
	v_cmp_eq_u32_e64 s[4:5], 0, v54
	s_and_saveexec_b64 s[44:45], s[4:5]
	s_cbranch_execz .LBB1_109
; %bb.104:                              ;   in Loop: Header=BB1_6 Depth=2
                                        ; implicit-def: $sgpr48
	s_and_saveexec_b64 s[4:5], vcc
	s_cbranch_execz .LBB1_106
; %bb.105:                              ;   in Loop: Header=BB1_6 Depth=2
	v_mul_hi_i32_i24_e32 v55, 7, v51
	v_mul_i32_i24_e32 v54, 7, v51
	v_lshlrev_b64 v[54:55], 2, v[54:55]
	v_add_co_u32_e32 v54, vcc, v16, v54
	v_addc_co_u32_e32 v55, vcc, v17, v55, vcc
	global_load_dword v51, v[54:55], off
	v_bfe_u32 v8, v8, 16, 11
	s_andn2_b64 s[46:47], s[46:47], exec
	s_mov_b32 s48, 0
	s_waitcnt vmcnt(0)
	v_bfe_u32 v51, v51, 16, 11
	v_cmp_lt_u32_e32 vcc, v8, v51
	s_and_b64 s[50:51], vcc, exec
	s_or_b64 s[46:47], s[46:47], s[50:51]
.LBB1_106:                              ;   in Loop: Header=BB1_6 Depth=2
	s_or_b64 exec, exec, s[4:5]
	v_mov_b32_e32 v51, s48
	s_and_saveexec_b64 s[4:5], s[46:47]
; %bb.107:                              ;   in Loop: Header=BB1_6 Depth=2
	v_mov_b32_e32 v51, 1
; %bb.108:                              ;   in Loop: Header=BB1_6 Depth=2
	s_or_b64 exec, exec, s[4:5]
.LBB1_109:                              ;   in Loop: Header=BB1_6 Depth=2
	s_or_b64 exec, exec, s[44:45]
	v_and_b32_e32 v8, 0x70000000, v9
	v_cmp_eq_u32_e32 vcc, 0, v8
	s_and_saveexec_b64 s[4:5], vcc
	s_cbranch_execz .LBB1_115
; %bb.110:                              ;   in Loop: Header=BB1_6 Depth=2
	v_cmp_eq_u32_e64 s[44:45], -1, v51
	v_cmp_ne_u32_e32 vcc, -1, v51
	s_and_saveexec_b64 s[46:47], vcc
	s_cbranch_execz .LBB1_112
; %bb.111:                              ;   in Loop: Header=BB1_6 Depth=2
	v_mul_hi_i32_i24_e32 v55, 7, v51
	v_mul_i32_i24_e32 v54, 7, v51
	v_lshlrev_b64 v[54:55], 2, v[54:55]
	v_add_co_u32_e32 v54, vcc, v16, v54
	v_addc_co_u32_e32 v55, vcc, v17, v55, vcc
	global_load_dword v8, v[54:55], off
	v_bfe_u32 v9, v9, 16, 11
	s_andn2_b64 s[44:45], s[44:45], exec
	s_waitcnt vmcnt(0)
	v_bfe_u32 v8, v8, 16, 11
	v_cmp_lt_u32_e32 vcc, v9, v8
	s_and_b64 s[48:49], vcc, exec
	s_or_b64 s[44:45], s[44:45], s[48:49]
.LBB1_112:                              ;   in Loop: Header=BB1_6 Depth=2
	s_or_b64 exec, exec, s[46:47]
	s_and_saveexec_b64 s[46:47], s[44:45]
; %bb.113:                              ;   in Loop: Header=BB1_6 Depth=2
	v_mov_b32_e32 v51, 2
; %bb.114:                              ;   in Loop: Header=BB1_6 Depth=2
	s_or_b64 exec, exec, s[46:47]
.LBB1_115:                              ;   in Loop: Header=BB1_6 Depth=2
	s_or_b64 exec, exec, s[4:5]
	v_and_b32_e32 v8, 0x70000000, v11
	v_cmp_eq_u32_e32 vcc, 0, v8
	s_and_saveexec_b64 s[4:5], vcc
	s_cbranch_execz .LBB1_121
; %bb.116:                              ;   in Loop: Header=BB1_6 Depth=2
	v_cmp_eq_u32_e64 s[44:45], -1, v51
	v_cmp_ne_u32_e32 vcc, -1, v51
	s_and_saveexec_b64 s[46:47], vcc
	s_cbranch_execz .LBB1_118
; %bb.117:                              ;   in Loop: Header=BB1_6 Depth=2
	v_mul_hi_i32_i24_e32 v9, 7, v51
	v_mul_i32_i24_e32 v8, 7, v51
	v_lshlrev_b64 v[8:9], 2, v[8:9]
	v_add_co_u32_e32 v8, vcc, v16, v8
	v_addc_co_u32_e32 v9, vcc, v17, v9, vcc
	global_load_dword v8, v[8:9], off
	v_bfe_u32 v9, v11, 16, 11
	s_andn2_b64 s[44:45], s[44:45], exec
	s_waitcnt vmcnt(0)
	v_bfe_u32 v8, v8, 16, 11
	v_cmp_lt_u32_e32 vcc, v9, v8
	s_and_b64 s[48:49], vcc, exec
	s_or_b64 s[44:45], s[44:45], s[48:49]
.LBB1_118:                              ;   in Loop: Header=BB1_6 Depth=2
	s_or_b64 exec, exec, s[46:47]
	s_and_saveexec_b64 s[46:47], s[44:45]
; %bb.119:                              ;   in Loop: Header=BB1_6 Depth=2
	v_mov_b32_e32 v51, 3
; %bb.120:                              ;   in Loop: Header=BB1_6 Depth=2
	s_or_b64 exec, exec, s[46:47]
.LBB1_121:                              ;   in Loop: Header=BB1_6 Depth=2
	;; [unrolled: 32-line block ×4, first 2 shown]
	s_or_b64 exec, exec, s[4:5]
	v_and_b32_e32 v8, 0x70000000, v31
	v_cmp_eq_u32_e32 vcc, 0, v8
	s_and_saveexec_b64 s[4:5], vcc
	s_cbranch_execz .LBB1_139
; %bb.134:                              ;   in Loop: Header=BB1_6 Depth=2
	v_cmp_eq_u32_e64 s[44:45], -1, v51
	v_cmp_ne_u32_e32 vcc, -1, v51
	s_and_saveexec_b64 s[46:47], vcc
	s_cbranch_execz .LBB1_136
; %bb.135:                              ;   in Loop: Header=BB1_6 Depth=2
	v_mad_i64_i32 v[8:9], s[48:49], v51, 28, v[16:17]
	global_load_dword v8, v[8:9], off
	v_bfe_u32 v9, v31, 16, 11
	s_andn2_b64 s[44:45], s[44:45], exec
	s_waitcnt vmcnt(0)
	v_bfe_u32 v8, v8, 16, 11
	v_cmp_lt_u32_e32 vcc, v9, v8
	s_and_b64 s[48:49], vcc, exec
	s_or_b64 s[44:45], s[44:45], s[48:49]
.LBB1_136:                              ;   in Loop: Header=BB1_6 Depth=2
	s_or_b64 exec, exec, s[46:47]
	s_and_saveexec_b64 s[46:47], s[44:45]
; %bb.137:                              ;   in Loop: Header=BB1_6 Depth=2
	v_mov_b32_e32 v51, 6
; %bb.138:                              ;   in Loop: Header=BB1_6 Depth=2
	s_or_b64 exec, exec, s[46:47]
.LBB1_139:                              ;   in Loop: Header=BB1_6 Depth=2
	s_or_b64 exec, exec, s[4:5]
	v_and_b32_e32 v8, 0x70000000, v33
	v_cmp_eq_u32_e32 vcc, 0, v8
	s_and_saveexec_b64 s[4:5], vcc
	s_cbranch_execz .LBB1_145
; %bb.140:                              ;   in Loop: Header=BB1_6 Depth=2
	v_cmp_eq_u32_e64 s[44:45], -1, v51
	v_cmp_ne_u32_e32 vcc, -1, v51
	s_and_saveexec_b64 s[46:47], vcc
	s_cbranch_execz .LBB1_142
; %bb.141:                              ;   in Loop: Header=BB1_6 Depth=2
	v_mad_i64_i32 v[8:9], s[48:49], v51, 28, v[16:17]
	global_load_dword v8, v[8:9], off
	v_bfe_u32 v9, v33, 16, 11
	s_andn2_b64 s[44:45], s[44:45], exec
	s_waitcnt vmcnt(0)
	v_bfe_u32 v8, v8, 16, 11
	v_cmp_lt_u32_e32 vcc, v9, v8
	s_and_b64 s[48:49], vcc, exec
	s_or_b64 s[44:45], s[44:45], s[48:49]
.LBB1_142:                              ;   in Loop: Header=BB1_6 Depth=2
	s_or_b64 exec, exec, s[46:47]
	s_and_saveexec_b64 s[46:47], s[44:45]
; %bb.143:                              ;   in Loop: Header=BB1_6 Depth=2
	v_mov_b32_e32 v51, 7
; %bb.144:                              ;   in Loop: Header=BB1_6 Depth=2
	s_or_b64 exec, exec, s[46:47]
.LBB1_145:                              ;   in Loop: Header=BB1_6 Depth=2
	s_or_b64 exec, exec, s[4:5]
.LBB1_146:                              ;   in Loop: Header=BB1_6 Depth=2
	s_or_b64 exec, exec, s[42:43]
	v_mad_i64_i32 v[8:9], s[4:5], v51, 28, v[14:15]
	global_store_byte v[8:9], v32, off
.LBB1_147:                              ;   in Loop: Header=BB1_6 Depth=2
	s_or_b64 exec, exec, s[40:41]
.LBB1_148:                              ;   in Loop: Header=BB1_6 Depth=2
	s_or_b64 exec, exec, s[38:39]
.LBB1_149:                              ;   in Loop: Header=BB1_6 Depth=2
	s_or_b64 exec, exec, s[36:37]
.LBB1_150:                              ;   in Loop: Header=BB1_6 Depth=2
	s_or_b64 exec, exec, s[34:35]
.LBB1_151:                              ;   in Loop: Header=BB1_6 Depth=2
	s_or_b64 exec, exec, s[30:31]
.LBB1_152:                              ;   in Loop: Header=BB1_6 Depth=2
	s_or_b64 exec, exec, s[10:11]
.LBB1_153:                              ;   in Loop: Header=BB1_6 Depth=2
	s_or_b64 exec, exec, s[8:9]
.LBB1_154:                              ;   in Loop: Header=BB1_6 Depth=2
	s_or_b64 exec, exec, s[6:7]
	v_mov_b32_e32 v33, v28
	v_mov_b32_e32 v31, v26
	v_bfe_u32 v28, v29, 27, 4
	v_bfe_u32 v26, v27, 27, 4
	v_mad_i64_i32 v[24:25], s[4:5], v51, 28, v[12:13]
	v_cmp_ge_u32_e32 vcc, v28, v26
	s_mov_b64 s[8:9], 0
                                        ; implicit-def: $sgpr46
                                        ; implicit-def: $vgpr54
	s_and_saveexec_b64 s[4:5], vcc
	s_xor_b64 s[6:7], exec, s[4:5]
	s_cbranch_execz .LBB1_159
; %bb.155:                              ;   in Loop: Header=BB1_6 Depth=2
	ds_read_u16 v8, v44
	ds_read_u8 v9, v44 offset:2
	v_cmp_ne_u32_e32 vcc, 0, v26
	s_mov_b64 s[4:5], 0
	buffer_store_dword v4, off, s[0:3], 0 offset:112
	buffer_store_dword v6, off, s[0:3], 0 offset:120
                                        ; implicit-def: $vgpr11
	s_waitcnt lgkmcnt(1)
	ds_write_b16 v46, v8
	s_waitcnt lgkmcnt(1)
	ds_write_b8 v46, v9 offset:2
	buffer_store_dword v5, off, s[0:3], 0 offset:116
	buffer_store_dword v33, off, s[0:3], 0 offset:128
	;; [unrolled: 1-line block ×4, first 2 shown]
	s_waitcnt vmcnt(6)
	buffer_store_byte v53, off, s[0:3], 0 offset:136
	ds_write2_b32 v45, v1, v2 offset0:1 offset1:2
	ds_write2_b32 v45, v3, v31 offset0:3 offset1:4
	ds_write2_b32 v45, v0, v27 offset1:5
	ds_write_b8 v45, v52 offset:24
                                        ; implicit-def: $vgpr8
                                        ; implicit-def: $vgpr9
	s_and_saveexec_b64 s[10:11], vcc
	s_xor_b64 s[10:11], exec, s[10:11]
	s_cbranch_execz .LBB1_174
; %bb.156:                              ;   in Loop: Header=BB1_6 Depth=2
	v_cmp_ge_i32_e32 vcc, v5, v1
	v_mov_b32_e32 v8, 0
	v_mov_b32_e32 v9, 1
	;; [unrolled: 1-line block ×3, first 2 shown]
	s_and_saveexec_b64 s[4:5], vcc
; %bb.157:                              ;   in Loop: Header=BB1_6 Depth=2
	v_cmp_le_i32_e32 vcc, v5, v1
	v_cndmask_b32_e64 v9, 0, 1, vcc
	v_mov_b32_e32 v8, 1
	v_mov_b32_e32 v11, v1
; %bb.158:                              ;   in Loop: Header=BB1_6 Depth=2
	s_or_b64 exec, exec, s[4:5]
	s_mov_b64 s[4:5], exec
	s_or_saveexec_b64 s[10:11], s[10:11]
                                        ; implicit-def: $sgpr30
	s_xor_b64 exec, exec, s[10:11]
	s_branch .LBB1_175
.LBB1_159:                              ;   in Loop: Header=BB1_6 Depth=2
	s_or_saveexec_b64 s[10:11], s[6:7]
	v_mov_b32_e32 v8, s46
	s_xor_b64 exec, exec, s[10:11]
	s_cbranch_execz .LBB1_294
.LBB1_160:                              ;   in Loop: Header=BB1_6 Depth=2
	v_cmp_eq_u32_e32 vcc, 0, v28
	v_cmp_lt_i32_e64 s[4:5], v1, v5
	v_cmp_le_i32_e64 s[6:7], v1, v5
	s_or_b64 s[4:5], vcc, s[4:5]
	s_or_b64 s[34:35], s[4:5], s[6:7]
	s_xor_b64 s[6:7], s[4:5], -1
	buffer_store_dword v0, off, s[0:3], 0 offset:56
	buffer_store_dword v2, off, s[0:3], 0 offset:64
	buffer_store_dword v1, off, s[0:3], 0 offset:60
	buffer_store_dword v31, off, s[0:3], 0 offset:72
	buffer_store_dword v3, off, s[0:3], 0 offset:68
	buffer_store_dword v27, off, s[0:3], 0 offset:76
	buffer_store_byte v52, off, s[0:3], 0 offset:80
	buffer_store_dword v4, off, s[0:3], 0 offset:84
	buffer_store_dword v6, off, s[0:3], 0 offset:92
	;; [unrolled: 1-line block ×6, first 2 shown]
	s_waitcnt vmcnt(13)
	buffer_store_byte v53, off, s[0:3], 0 offset:108
	v_cndmask_b32_e64 v4, 0, 1, s[34:35]
	v_cndmask_b32_e64 v0, 0, 1, s[6:7]
	;; [unrolled: 1-line block ×3, first 2 shown]
	v_cmp_ne_u32_e64 s[6:7], v28, v0
	v_cmp_ne_u32_e32 vcc, v26, v4
	s_mov_b64 s[30:31], 0
	s_mov_b64 s[38:39], 0
	global_store_dword v[24:25], v8, off offset:4
                                        ; implicit-def: $vgpr8
	s_and_saveexec_b64 s[36:37], s[6:7]
	s_xor_b64 s[36:37], exec, s[36:37]
	s_cbranch_execz .LBB1_191
; %bb.161:                              ;   in Loop: Header=BB1_6 Depth=2
	v_lshl_add_u32 v54, v0, 2, v36
                                        ; implicit-def: $vgpr8
	s_and_saveexec_b64 s[6:7], vcc
	s_xor_b64 s[38:39], exec, s[6:7]
	s_cbranch_execz .LBB1_171
; %bb.162:                              ;   in Loop: Header=BB1_6 Depth=2
	v_lshl_add_u32 v8, v4, 2, v35
	buffer_load_dword v9, v8, s[0:3], 0 offen
	buffer_load_dword v11, v54, s[0:3], 0 offen
                                        ; implicit-def: $vgpr8
	s_waitcnt vmcnt(0)
	v_cmp_ge_i32_e64 s[6:7], v9, v11
	s_and_saveexec_b64 s[40:41], s[6:7]
	s_xor_b64 s[40:41], exec, s[40:41]
	s_cbranch_execz .LBB1_168
; %bb.163:                              ;   in Loop: Header=BB1_6 Depth=2
	v_cmp_le_i32_e64 s[6:7], v9, v11
                                        ; implicit-def: $vgpr0
                                        ; implicit-def: $vgpr8
	s_and_saveexec_b64 s[42:43], s[6:7]
	s_xor_b64 s[6:7], exec, s[42:43]
	s_cbranch_execz .LBB1_165
; %bb.164:                              ;   in Loop: Header=BB1_6 Depth=2
	v_cndmask_b32_e64 v8, 1, 2, s[34:35]
	v_cndmask_b32_e64 v0, 2, 1, s[4:5]
	global_store_dword v[24:25], v9, off offset:8
                                        ; implicit-def: $vgpr11
                                        ; implicit-def: $vgpr4
.LBB1_165:                              ;   in Loop: Header=BB1_6 Depth=2
	s_andn2_saveexec_b64 s[6:7], s[6:7]
	s_cbranch_execz .LBB1_167
; %bb.166:                              ;   in Loop: Header=BB1_6 Depth=2
	v_cndmask_b32_e64 v0, 2, 1, s[4:5]
	v_mov_b32_e32 v8, v4
	global_store_dword v[24:25], v11, off offset:8
.LBB1_167:                              ;   in Loop: Header=BB1_6 Depth=2
	s_or_b64 exec, exec, s[6:7]
                                        ; implicit-def: $vgpr9
.LBB1_168:                              ;   in Loop: Header=BB1_6 Depth=2
	s_andn2_saveexec_b64 s[6:7], s[40:41]
	s_cbranch_execz .LBB1_170
; %bb.169:                              ;   in Loop: Header=BB1_6 Depth=2
	v_cndmask_b32_e64 v8, 1, 2, s[34:35]
	global_store_dword v[24:25], v9, off offset:8
.LBB1_170:                              ;   in Loop: Header=BB1_6 Depth=2
	s_or_b64 exec, exec, s[6:7]
                                        ; implicit-def: $vgpr54
.LBB1_171:                              ;   in Loop: Header=BB1_6 Depth=2
	s_andn2_saveexec_b64 s[6:7], s[38:39]
	s_cbranch_execz .LBB1_173
; %bb.172:                              ;   in Loop: Header=BB1_6 Depth=2
	buffer_load_dword v4, v54, s[0:3], 0 offen
	v_mov_b32_e32 v8, 1
	v_cndmask_b32_e64 v0, 2, 1, s[4:5]
	s_waitcnt vmcnt(0)
	global_store_dword v[24:25], v4, off offset:8
.LBB1_173:                              ;   in Loop: Header=BB1_6 Depth=2
	s_or_b64 exec, exec, s[6:7]
	s_mov_b64 s[38:39], exec
                                        ; implicit-def: $vgpr4
	s_or_saveexec_b64 s[4:5], s[36:37]
                                        ; implicit-def: $sgpr36
	s_xor_b64 exec, exec, s[4:5]
	s_cbranch_execz .LBB1_195
	s_branch .LBB1_192
.LBB1_174:                              ;   in Loop: Header=BB1_6 Depth=2
	s_or_saveexec_b64 s[10:11], s[10:11]
                                        ; implicit-def: $sgpr30
	s_xor_b64 exec, exec, s[10:11]
.LBB1_175:                              ;   in Loop: Header=BB1_6 Depth=2
	v_cmp_ne_u32_e32 vcc, 0, v28
	s_andn2_b64 s[4:5], s[4:5], exec
	s_and_b64 s[34:35], vcc, exec
	s_mov_b64 s[8:9], exec
	s_mov_b32 s30, 0
	v_mov_b32_e32 v8, 0
	v_mov_b32_e32 v9, 1
	s_or_b64 s[4:5], s[4:5], s[34:35]
	v_mov_b32_e32 v11, v5
; %bb.176:                              ;   in Loop: Header=BB1_6 Depth=2
	s_or_b64 exec, exec, s[10:11]
	v_mov_b32_e32 v55, s30
                                        ; implicit-def: $sgpr46
	s_and_saveexec_b64 s[10:11], s[4:5]
	s_cbranch_execz .LBB1_291
; %bb.177:                              ;   in Loop: Header=BB1_6 Depth=2
	v_cmp_ne_u32_e64 s[4:5], v8, v26
	v_cmp_ne_u32_e32 vcc, v9, v28
	s_mov_b64 s[30:31], 0
	s_mov_b64 s[36:37], 0
	global_store_dword v[24:25], v11, off offset:4
                                        ; implicit-def: $vgpr11
	s_and_saveexec_b64 s[34:35], s[4:5]
	s_xor_b64 s[34:35], exec, s[34:35]
	s_cbranch_execz .LBB1_242
; %bb.178:                              ;   in Loop: Header=BB1_6 Depth=2
	v_lshl_add_u32 v55, v8, 2, v47
                                        ; implicit-def: $vgpr11
	s_and_saveexec_b64 s[4:5], vcc
	s_xor_b64 s[36:37], exec, s[4:5]
	s_cbranch_execz .LBB1_188
; %bb.179:                              ;   in Loop: Header=BB1_6 Depth=2
	v_lshl_add_u32 v11, v9, 2, v34
	buffer_load_dword v54, v11, s[0:3], 0 offen
	ds_read_b32 v55, v55
                                        ; implicit-def: $vgpr11
	s_waitcnt vmcnt(0) lgkmcnt(0)
	v_cmp_ge_i32_e64 s[4:5], v54, v55
	s_and_saveexec_b64 s[38:39], s[4:5]
	s_xor_b64 s[38:39], exec, s[38:39]
	s_cbranch_execz .LBB1_185
; %bb.180:                              ;   in Loop: Header=BB1_6 Depth=2
	v_cmp_le_i32_e64 s[4:5], v54, v55
                                        ; implicit-def: $vgpr11
	s_and_saveexec_b64 s[40:41], s[4:5]
	s_xor_b64 s[4:5], exec, s[40:41]
	s_cbranch_execz .LBB1_182
; %bb.181:                              ;   in Loop: Header=BB1_6 Depth=2
	v_add_u32_e32 v11, 1, v9
	v_add_u32_e32 v8, 1, v8
	global_store_dword v[24:25], v54, off offset:8
                                        ; implicit-def: $vgpr55
                                        ; implicit-def: $vgpr9
.LBB1_182:                              ;   in Loop: Header=BB1_6 Depth=2
	s_andn2_saveexec_b64 s[4:5], s[4:5]
	s_cbranch_execz .LBB1_184
; %bb.183:                              ;   in Loop: Header=BB1_6 Depth=2
	v_add_u32_e32 v8, 1, v8
	v_mov_b32_e32 v11, v9
	global_store_dword v[24:25], v55, off offset:8
.LBB1_184:                              ;   in Loop: Header=BB1_6 Depth=2
	s_or_b64 exec, exec, s[4:5]
                                        ; implicit-def: $vgpr9
                                        ; implicit-def: $vgpr54
.LBB1_185:                              ;   in Loop: Header=BB1_6 Depth=2
	s_andn2_saveexec_b64 s[4:5], s[38:39]
	s_cbranch_execz .LBB1_187
; %bb.186:                              ;   in Loop: Header=BB1_6 Depth=2
	v_add_u32_e32 v11, 1, v9
	global_store_dword v[24:25], v54, off offset:8
.LBB1_187:                              ;   in Loop: Header=BB1_6 Depth=2
	s_or_b64 exec, exec, s[4:5]
                                        ; implicit-def: $vgpr55
.LBB1_188:                              ;   in Loop: Header=BB1_6 Depth=2
	s_andn2_saveexec_b64 s[4:5], s[36:37]
	s_cbranch_execz .LBB1_190
; %bb.189:                              ;   in Loop: Header=BB1_6 Depth=2
	ds_read_b32 v9, v55
	v_add_u32_e32 v8, 1, v8
	v_mov_b32_e32 v11, v28
	s_waitcnt lgkmcnt(0)
	global_store_dword v[24:25], v9, off offset:8
.LBB1_190:                              ;   in Loop: Header=BB1_6 Depth=2
	s_or_b64 exec, exec, s[4:5]
	s_mov_b64 s[36:37], exec
                                        ; implicit-def: $vgpr9
	s_or_saveexec_b64 s[4:5], s[34:35]
                                        ; implicit-def: $sgpr38
	s_xor_b64 exec, exec, s[4:5]
	s_cbranch_execz .LBB1_246
	s_branch .LBB1_243
.LBB1_191:                              ;   in Loop: Header=BB1_6 Depth=2
	s_or_saveexec_b64 s[4:5], s[36:37]
                                        ; implicit-def: $sgpr36
	s_xor_b64 exec, exec, s[4:5]
	s_cbranch_execz .LBB1_195
.LBB1_192:                              ;   in Loop: Header=BB1_6 Depth=2
	s_mov_b64 s[30:31], -1
	s_mov_b64 s[6:7], s[38:39]
                                        ; implicit-def: $vgpr8
	s_and_saveexec_b64 s[36:37], vcc
	s_cbranch_execz .LBB1_194
; %bb.193:                              ;   in Loop: Header=BB1_6 Depth=2
	v_lshl_add_u32 v0, v4, 2, v35
	buffer_load_dword v0, v0, s[0:3], 0 offen
	v_cndmask_b32_e64 v8, 1, 2, s[34:35]
	s_xor_b64 s[30:31], exec, -1
	s_or_b64 s[6:7], s[38:39], exec
	s_waitcnt vmcnt(0)
	global_store_dword v[24:25], v0, off offset:8
.LBB1_194:                              ;   in Loop: Header=BB1_6 Depth=2
	s_or_b64 exec, exec, s[36:37]
	s_andn2_b64 s[34:35], s[38:39], exec
	s_and_b64 s[6:7], s[6:7], exec
	s_brev_b32 s36, 16
	s_and_b64 s[30:31], s[30:31], exec
	s_or_b64 s[38:39], s[34:35], s[6:7]
	v_mov_b32_e32 v0, v28
.LBB1_195:                              ;   in Loop: Header=BB1_6 Depth=2
	s_or_b64 exec, exec, s[4:5]
	v_mov_b32_e32 v9, s36
                                        ; implicit-def: $sgpr44
	s_and_saveexec_b64 s[6:7], s[38:39]
	s_cbranch_execz .LBB1_239
; %bb.196:                              ;   in Loop: Header=BB1_6 Depth=2
	v_cmp_ne_u32_e64 s[4:5], v0, v28
	v_cmp_ne_u32_e32 vcc, v8, v26
	s_mov_b64 s[38:39], 0
                                        ; implicit-def: $vgpr4
	s_and_saveexec_b64 s[34:35], s[4:5]
	s_xor_b64 s[34:35], exec, s[34:35]
	s_cbranch_execz .LBB1_210
; %bb.197:                              ;   in Loop: Header=BB1_6 Depth=2
	v_lshl_add_u32 v54, v0, 2, v36
                                        ; implicit-def: $vgpr4
	s_and_saveexec_b64 s[4:5], vcc
	s_xor_b64 s[36:37], exec, s[4:5]
	s_cbranch_execz .LBB1_207
; %bb.198:                              ;   in Loop: Header=BB1_6 Depth=2
	v_lshl_add_u32 v4, v8, 2, v35
	buffer_load_dword v9, v4, s[0:3], 0 offen
	buffer_load_dword v11, v54, s[0:3], 0 offen
                                        ; implicit-def: $vgpr4
	s_waitcnt vmcnt(0)
	v_cmp_ge_i32_e64 s[4:5], v9, v11
	s_and_saveexec_b64 s[38:39], s[4:5]
	s_xor_b64 s[38:39], exec, s[38:39]
	s_cbranch_execz .LBB1_204
; %bb.199:                              ;   in Loop: Header=BB1_6 Depth=2
	v_cmp_le_i32_e64 s[4:5], v9, v11
                                        ; implicit-def: $vgpr4
	s_and_saveexec_b64 s[40:41], s[4:5]
	s_xor_b64 s[4:5], exec, s[40:41]
	s_cbranch_execz .LBB1_201
; %bb.200:                              ;   in Loop: Header=BB1_6 Depth=2
	v_add_u32_e32 v4, 1, v8
	v_add_u32_e32 v0, 1, v0
	global_store_dword v[24:25], v9, off offset:12
                                        ; implicit-def: $vgpr11
                                        ; implicit-def: $vgpr8
.LBB1_201:                              ;   in Loop: Header=BB1_6 Depth=2
	s_andn2_saveexec_b64 s[4:5], s[4:5]
	s_cbranch_execz .LBB1_203
; %bb.202:                              ;   in Loop: Header=BB1_6 Depth=2
	v_add_u32_e32 v0, 1, v0
	v_mov_b32_e32 v4, v8
	global_store_dword v[24:25], v11, off offset:12
.LBB1_203:                              ;   in Loop: Header=BB1_6 Depth=2
	s_or_b64 exec, exec, s[4:5]
                                        ; implicit-def: $vgpr8
                                        ; implicit-def: $vgpr9
.LBB1_204:                              ;   in Loop: Header=BB1_6 Depth=2
	s_andn2_saveexec_b64 s[4:5], s[38:39]
	s_cbranch_execz .LBB1_206
; %bb.205:                              ;   in Loop: Header=BB1_6 Depth=2
	v_add_u32_e32 v4, 1, v8
	global_store_dword v[24:25], v9, off offset:12
.LBB1_206:                              ;   in Loop: Header=BB1_6 Depth=2
	s_or_b64 exec, exec, s[4:5]
                                        ; implicit-def: $vgpr54
.LBB1_207:                              ;   in Loop: Header=BB1_6 Depth=2
	s_andn2_saveexec_b64 s[4:5], s[36:37]
	s_cbranch_execz .LBB1_209
; %bb.208:                              ;   in Loop: Header=BB1_6 Depth=2
	buffer_load_dword v4, v54, s[0:3], 0 offen
	v_add_u32_e32 v0, 1, v0
	s_waitcnt vmcnt(0)
	global_store_dword v[24:25], v4, off offset:12
	v_mov_b32_e32 v4, v26
.LBB1_209:                              ;   in Loop: Header=BB1_6 Depth=2
	s_or_b64 exec, exec, s[4:5]
	s_mov_b64 s[38:39], exec
                                        ; implicit-def: $vgpr8
.LBB1_210:                              ;   in Loop: Header=BB1_6 Depth=2
	s_or_saveexec_b64 s[4:5], s[34:35]
	s_mov_b64 s[34:35], s[30:31]
                                        ; implicit-def: $sgpr40
	s_xor_b64 exec, exec, s[4:5]
	s_cbranch_execz .LBB1_214
; %bb.211:                              ;   in Loop: Header=BB1_6 Depth=2
	s_mov_b64 s[34:35], -1
	s_mov_b64 s[36:37], s[38:39]
                                        ; implicit-def: $vgpr4
	s_and_saveexec_b64 s[40:41], vcc
	s_cbranch_execz .LBB1_213
; %bb.212:                              ;   in Loop: Header=BB1_6 Depth=2
	v_lshl_add_u32 v0, v8, 2, v35
	buffer_load_dword v0, v0, s[0:3], 0 offen
	v_add_u32_e32 v4, 1, v8
	s_xor_b64 s[34:35], exec, -1
	s_or_b64 s[36:37], s[38:39], exec
	s_waitcnt vmcnt(0)
	global_store_dword v[24:25], v0, off offset:12
.LBB1_213:                              ;   in Loop: Header=BB1_6 Depth=2
	s_or_b64 exec, exec, s[40:41]
	s_andn2_b64 s[42:43], s[30:31], exec
	s_and_b64 s[34:35], s[34:35], exec
	s_andn2_b64 s[38:39], s[38:39], exec
	s_and_b64 s[36:37], s[36:37], exec
	s_brev_b32 s40, 8
	s_or_b64 s[34:35], s[42:43], s[34:35]
	s_or_b64 s[38:39], s[38:39], s[36:37]
	v_mov_b32_e32 v0, v28
.LBB1_214:                              ;   in Loop: Header=BB1_6 Depth=2
	s_or_b64 exec, exec, s[4:5]
	v_mov_b32_e32 v9, s40
                                        ; implicit-def: $sgpr44
	s_and_saveexec_b64 s[36:37], s[38:39]
	s_cbranch_execz .LBB1_238
; %bb.215:                              ;   in Loop: Header=BB1_6 Depth=2
	v_cmp_ne_u32_e64 s[4:5], v0, v28
	v_cmp_ne_u32_e32 vcc, v4, v26
	s_mov_b64 s[40:41], 0
                                        ; implicit-def: $vgpr8
	s_and_saveexec_b64 s[38:39], s[4:5]
	s_xor_b64 s[38:39], exec, s[38:39]
	s_cbranch_execz .LBB1_229
; %bb.216:                              ;   in Loop: Header=BB1_6 Depth=2
	v_lshl_add_u32 v54, v0, 2, v36
                                        ; implicit-def: $vgpr8
	s_and_saveexec_b64 s[4:5], vcc
	s_xor_b64 s[40:41], exec, s[4:5]
	s_cbranch_execz .LBB1_226
; %bb.217:                              ;   in Loop: Header=BB1_6 Depth=2
	v_lshl_add_u32 v8, v4, 2, v35
	buffer_load_dword v9, v8, s[0:3], 0 offen
	buffer_load_dword v11, v54, s[0:3], 0 offen
                                        ; implicit-def: $vgpr8
	s_waitcnt vmcnt(0)
	v_cmp_ge_i32_e64 s[4:5], v9, v11
	s_and_saveexec_b64 s[42:43], s[4:5]
	s_xor_b64 s[42:43], exec, s[42:43]
	s_cbranch_execz .LBB1_223
; %bb.218:                              ;   in Loop: Header=BB1_6 Depth=2
	v_cmp_le_i32_e64 s[4:5], v9, v11
                                        ; implicit-def: $vgpr8
	s_and_saveexec_b64 s[44:45], s[4:5]
	s_xor_b64 s[4:5], exec, s[44:45]
	s_cbranch_execz .LBB1_220
; %bb.219:                              ;   in Loop: Header=BB1_6 Depth=2
	v_add_u32_e32 v8, 1, v4
	v_add_u32_e32 v0, 1, v0
	global_store_dword v[24:25], v9, off offset:16
                                        ; implicit-def: $vgpr11
                                        ; implicit-def: $vgpr4
.LBB1_220:                              ;   in Loop: Header=BB1_6 Depth=2
	s_andn2_saveexec_b64 s[4:5], s[4:5]
	s_cbranch_execz .LBB1_222
; %bb.221:                              ;   in Loop: Header=BB1_6 Depth=2
	v_add_u32_e32 v0, 1, v0
	v_mov_b32_e32 v8, v4
	global_store_dword v[24:25], v11, off offset:16
.LBB1_222:                              ;   in Loop: Header=BB1_6 Depth=2
	s_or_b64 exec, exec, s[4:5]
                                        ; implicit-def: $vgpr4
                                        ; implicit-def: $vgpr9
.LBB1_223:                              ;   in Loop: Header=BB1_6 Depth=2
	s_andn2_saveexec_b64 s[4:5], s[42:43]
	s_cbranch_execz .LBB1_225
; %bb.224:                              ;   in Loop: Header=BB1_6 Depth=2
	v_add_u32_e32 v8, 1, v4
	global_store_dword v[24:25], v9, off offset:16
.LBB1_225:                              ;   in Loop: Header=BB1_6 Depth=2
	s_or_b64 exec, exec, s[4:5]
                                        ; implicit-def: $vgpr54
.LBB1_226:                              ;   in Loop: Header=BB1_6 Depth=2
	s_andn2_saveexec_b64 s[4:5], s[40:41]
	s_cbranch_execz .LBB1_228
; %bb.227:                              ;   in Loop: Header=BB1_6 Depth=2
	buffer_load_dword v4, v54, s[0:3], 0 offen
	v_add_u32_e32 v0, 1, v0
	v_mov_b32_e32 v8, v26
	s_waitcnt vmcnt(0)
	global_store_dword v[24:25], v4, off offset:16
.LBB1_228:                              ;   in Loop: Header=BB1_6 Depth=2
	s_or_b64 exec, exec, s[4:5]
	s_mov_b64 s[40:41], exec
                                        ; implicit-def: $vgpr4
.LBB1_229:                              ;   in Loop: Header=BB1_6 Depth=2
	s_or_saveexec_b64 s[4:5], s[38:39]
	s_mov_b64 s[38:39], s[34:35]
                                        ; implicit-def: $sgpr44
	s_xor_b64 exec, exec, s[4:5]
	s_cbranch_execz .LBB1_233
; %bb.230:                              ;   in Loop: Header=BB1_6 Depth=2
	s_mov_b64 s[38:39], -1
	s_mov_b64 s[42:43], s[40:41]
                                        ; implicit-def: $vgpr8
	s_and_saveexec_b64 s[44:45], vcc
	s_cbranch_execz .LBB1_232
; %bb.231:                              ;   in Loop: Header=BB1_6 Depth=2
	v_lshl_add_u32 v0, v4, 2, v35
	buffer_load_dword v0, v0, s[0:3], 0 offen
	v_add_u32_e32 v8, 1, v4
	s_xor_b64 s[38:39], exec, -1
	s_or_b64 s[42:43], s[40:41], exec
	s_waitcnt vmcnt(0)
	global_store_dword v[24:25], v0, off offset:16
.LBB1_232:                              ;   in Loop: Header=BB1_6 Depth=2
	s_or_b64 exec, exec, s[44:45]
	s_andn2_b64 s[46:47], s[34:35], exec
	s_and_b64 s[38:39], s[38:39], exec
	s_andn2_b64 s[40:41], s[40:41], exec
	s_and_b64 s[42:43], s[42:43], exec
	s_brev_b32 s44, 24
	s_or_b64 s[38:39], s[46:47], s[38:39]
	s_or_b64 s[40:41], s[40:41], s[42:43]
	v_mov_b32_e32 v0, v28
.LBB1_233:                              ;   in Loop: Header=BB1_6 Depth=2
	s_or_b64 exec, exec, s[4:5]
	v_mov_b32_e32 v9, s44
                                        ; implicit-def: $sgpr44
	s_and_saveexec_b64 s[42:43], s[40:41]
	s_cbranch_execz .LBB1_237
; %bb.234:                              ;   in Loop: Header=BB1_6 Depth=2
	v_cmp_lt_u32_e32 vcc, v8, v26
	v_cmp_lt_u32_e64 s[4:5], v0, v28
	s_or_b64 s[46:47], vcc, s[4:5]
	s_mov_b64 s[4:5], -1
                                        ; implicit-def: $sgpr44
	s_and_saveexec_b64 s[40:41], s[46:47]
; %bb.235:                              ;   in Loop: Header=BB1_6 Depth=2
	s_mov_b32 s44, 7
	s_xor_b64 s[4:5], exec, -1
; %bb.236:                              ;   in Loop: Header=BB1_6 Depth=2
	s_or_b64 exec, exec, s[40:41]
	s_andn2_b64 s[38:39], s[38:39], exec
	s_and_b64 s[4:5], s[4:5], exec
	v_bfrev_b32_e32 v9, 4
	s_or_b64 s[38:39], s[38:39], s[4:5]
.LBB1_237:                              ;   in Loop: Header=BB1_6 Depth=2
	s_or_b64 exec, exec, s[42:43]
	s_andn2_b64 s[4:5], s[34:35], exec
	s_and_b64 s[34:35], s[38:39], exec
	s_or_b64 s[34:35], s[4:5], s[34:35]
.LBB1_238:                              ;   in Loop: Header=BB1_6 Depth=2
	s_or_b64 exec, exec, s[36:37]
	s_andn2_b64 s[4:5], s[30:31], exec
	s_and_b64 s[30:31], s[34:35], exec
	s_or_b64 s[30:31], s[4:5], s[30:31]
.LBB1_239:                              ;   in Loop: Header=BB1_6 Depth=2
	s_or_b64 exec, exec, s[6:7]
	s_mov_b64 s[4:5], s[8:9]
                                        ; implicit-def: $vgpr54
	s_and_saveexec_b64 s[6:7], s[30:31]
	s_cbranch_execz .LBB1_241
; %bb.240:                              ;   in Loop: Header=BB1_6 Depth=2
	global_load_dword v0, v[24:25], off offset:20
	s_or_b64 s[4:5], s[8:9], exec
	s_waitcnt vmcnt(0)
	v_and_or_b32 v54, v0, s75, v9
	global_store_dword v[24:25], v54, off offset:20
.LBB1_241:                              ;   in Loop: Header=BB1_6 Depth=2
	s_or_b64 exec, exec, s[6:7]
	s_andn2_b64 s[6:7], s[8:9], exec
	s_and_b64 s[4:5], s[4:5], exec
	v_mov_b32_e32 v8, s44
	s_or_b64 s[8:9], s[6:7], s[4:5]
	s_or_b64 exec, exec, s[10:11]
	s_and_saveexec_b64 s[30:31], s[8:9]
	s_cbranch_execz .LBB1_526
	s_branch .LBB1_295
.LBB1_242:                              ;   in Loop: Header=BB1_6 Depth=2
	s_or_saveexec_b64 s[4:5], s[34:35]
                                        ; implicit-def: $sgpr38
	s_xor_b64 exec, exec, s[4:5]
	s_cbranch_execz .LBB1_246
.LBB1_243:                              ;   in Loop: Header=BB1_6 Depth=2
	s_mov_b64 s[30:31], -1
	s_mov_b64 s[34:35], s[36:37]
                                        ; implicit-def: $vgpr11
	s_and_saveexec_b64 s[38:39], vcc
	s_cbranch_execz .LBB1_245
; %bb.244:                              ;   in Loop: Header=BB1_6 Depth=2
	v_lshl_add_u32 v8, v9, 2, v34
	buffer_load_dword v8, v8, s[0:3], 0 offen
	v_add_u32_e32 v11, 1, v9
	s_xor_b64 s[30:31], exec, -1
	s_or_b64 s[34:35], s[36:37], exec
	s_waitcnt vmcnt(0)
	global_store_dword v[24:25], v8, off offset:8
.LBB1_245:                              ;   in Loop: Header=BB1_6 Depth=2
	s_or_b64 exec, exec, s[38:39]
	s_andn2_b64 s[36:37], s[36:37], exec
	s_and_b64 s[34:35], s[34:35], exec
	s_brev_b32 s38, 16
	s_and_b64 s[30:31], s[30:31], exec
	s_or_b64 s[36:37], s[36:37], s[34:35]
	v_mov_b32_e32 v8, v26
.LBB1_246:                              ;   in Loop: Header=BB1_6 Depth=2
	s_or_b64 exec, exec, s[4:5]
	v_mov_b32_e32 v55, s38
                                        ; implicit-def: $sgpr46
	s_and_saveexec_b64 s[34:35], s[36:37]
	s_cbranch_execz .LBB1_290
; %bb.247:                              ;   in Loop: Header=BB1_6 Depth=2
	v_cmp_ne_u32_e64 s[4:5], v8, v26
	v_cmp_ne_u32_e32 vcc, v11, v28
	s_mov_b64 s[40:41], 0
                                        ; implicit-def: $vgpr9
	s_and_saveexec_b64 s[36:37], s[4:5]
	s_xor_b64 s[36:37], exec, s[36:37]
	s_cbranch_execz .LBB1_261
; %bb.248:                              ;   in Loop: Header=BB1_6 Depth=2
	v_lshl_add_u32 v55, v8, 2, v47
                                        ; implicit-def: $vgpr9
	s_and_saveexec_b64 s[4:5], vcc
	s_xor_b64 s[38:39], exec, s[4:5]
	s_cbranch_execz .LBB1_258
; %bb.249:                              ;   in Loop: Header=BB1_6 Depth=2
	v_lshl_add_u32 v9, v11, 2, v34
	buffer_load_dword v54, v9, s[0:3], 0 offen
	ds_read_b32 v55, v55
                                        ; implicit-def: $vgpr9
	s_waitcnt vmcnt(0) lgkmcnt(0)
	v_cmp_ge_i32_e64 s[4:5], v54, v55
	s_and_saveexec_b64 s[40:41], s[4:5]
	s_xor_b64 s[40:41], exec, s[40:41]
	s_cbranch_execz .LBB1_255
; %bb.250:                              ;   in Loop: Header=BB1_6 Depth=2
	v_cmp_le_i32_e64 s[4:5], v54, v55
                                        ; implicit-def: $vgpr9
	s_and_saveexec_b64 s[42:43], s[4:5]
	s_xor_b64 s[4:5], exec, s[42:43]
	s_cbranch_execz .LBB1_252
; %bb.251:                              ;   in Loop: Header=BB1_6 Depth=2
	v_add_u32_e32 v9, 1, v11
	v_add_u32_e32 v8, 1, v8
	global_store_dword v[24:25], v54, off offset:12
                                        ; implicit-def: $vgpr55
                                        ; implicit-def: $vgpr11
.LBB1_252:                              ;   in Loop: Header=BB1_6 Depth=2
	s_andn2_saveexec_b64 s[4:5], s[4:5]
	s_cbranch_execz .LBB1_254
; %bb.253:                              ;   in Loop: Header=BB1_6 Depth=2
	v_add_u32_e32 v8, 1, v8
	v_mov_b32_e32 v9, v11
	global_store_dword v[24:25], v55, off offset:12
.LBB1_254:                              ;   in Loop: Header=BB1_6 Depth=2
	s_or_b64 exec, exec, s[4:5]
                                        ; implicit-def: $vgpr11
                                        ; implicit-def: $vgpr54
.LBB1_255:                              ;   in Loop: Header=BB1_6 Depth=2
	s_andn2_saveexec_b64 s[4:5], s[40:41]
	s_cbranch_execz .LBB1_257
; %bb.256:                              ;   in Loop: Header=BB1_6 Depth=2
	v_add_u32_e32 v9, 1, v11
	global_store_dword v[24:25], v54, off offset:12
.LBB1_257:                              ;   in Loop: Header=BB1_6 Depth=2
	s_or_b64 exec, exec, s[4:5]
                                        ; implicit-def: $vgpr55
.LBB1_258:                              ;   in Loop: Header=BB1_6 Depth=2
	s_andn2_saveexec_b64 s[4:5], s[38:39]
	s_cbranch_execz .LBB1_260
; %bb.259:                              ;   in Loop: Header=BB1_6 Depth=2
	ds_read_b32 v9, v55
	v_add_u32_e32 v8, 1, v8
	s_waitcnt lgkmcnt(0)
	global_store_dword v[24:25], v9, off offset:12
	v_mov_b32_e32 v9, v28
.LBB1_260:                              ;   in Loop: Header=BB1_6 Depth=2
	s_or_b64 exec, exec, s[4:5]
	s_mov_b64 s[40:41], exec
                                        ; implicit-def: $vgpr11
.LBB1_261:                              ;   in Loop: Header=BB1_6 Depth=2
	s_or_saveexec_b64 s[4:5], s[36:37]
	s_mov_b64 s[36:37], s[30:31]
                                        ; implicit-def: $sgpr42
	s_xor_b64 exec, exec, s[4:5]
	s_cbranch_execz .LBB1_265
; %bb.262:                              ;   in Loop: Header=BB1_6 Depth=2
	s_mov_b64 s[36:37], -1
	s_mov_b64 s[38:39], s[40:41]
                                        ; implicit-def: $vgpr9
	s_and_saveexec_b64 s[42:43], vcc
	s_cbranch_execz .LBB1_264
; %bb.263:                              ;   in Loop: Header=BB1_6 Depth=2
	v_lshl_add_u32 v8, v11, 2, v34
	buffer_load_dword v8, v8, s[0:3], 0 offen
	v_add_u32_e32 v9, 1, v11
	s_xor_b64 s[36:37], exec, -1
	s_or_b64 s[38:39], s[40:41], exec
	s_waitcnt vmcnt(0)
	global_store_dword v[24:25], v8, off offset:12
.LBB1_264:                              ;   in Loop: Header=BB1_6 Depth=2
	s_or_b64 exec, exec, s[42:43]
	s_andn2_b64 s[44:45], s[30:31], exec
	s_and_b64 s[36:37], s[36:37], exec
	s_andn2_b64 s[40:41], s[40:41], exec
	s_and_b64 s[38:39], s[38:39], exec
	s_brev_b32 s42, 8
	s_or_b64 s[36:37], s[44:45], s[36:37]
	s_or_b64 s[40:41], s[40:41], s[38:39]
	v_mov_b32_e32 v8, v26
.LBB1_265:                              ;   in Loop: Header=BB1_6 Depth=2
	s_or_b64 exec, exec, s[4:5]
	v_mov_b32_e32 v55, s42
                                        ; implicit-def: $sgpr46
	s_and_saveexec_b64 s[38:39], s[40:41]
	s_cbranch_execz .LBB1_289
; %bb.266:                              ;   in Loop: Header=BB1_6 Depth=2
	v_cmp_ne_u32_e64 s[4:5], v8, v26
	v_cmp_ne_u32_e32 vcc, v9, v28
	s_mov_b64 s[42:43], 0
                                        ; implicit-def: $vgpr11
	s_and_saveexec_b64 s[40:41], s[4:5]
	s_xor_b64 s[40:41], exec, s[40:41]
	s_cbranch_execz .LBB1_280
; %bb.267:                              ;   in Loop: Header=BB1_6 Depth=2
	v_lshl_add_u32 v55, v8, 2, v47
                                        ; implicit-def: $vgpr11
	s_and_saveexec_b64 s[4:5], vcc
	s_xor_b64 s[42:43], exec, s[4:5]
	s_cbranch_execz .LBB1_277
; %bb.268:                              ;   in Loop: Header=BB1_6 Depth=2
	v_lshl_add_u32 v11, v9, 2, v34
	buffer_load_dword v54, v11, s[0:3], 0 offen
	ds_read_b32 v55, v55
                                        ; implicit-def: $vgpr11
	s_waitcnt vmcnt(0) lgkmcnt(0)
	v_cmp_ge_i32_e64 s[4:5], v54, v55
	s_and_saveexec_b64 s[44:45], s[4:5]
	s_xor_b64 s[44:45], exec, s[44:45]
	s_cbranch_execz .LBB1_274
; %bb.269:                              ;   in Loop: Header=BB1_6 Depth=2
	v_cmp_le_i32_e64 s[4:5], v54, v55
                                        ; implicit-def: $vgpr11
	s_and_saveexec_b64 s[46:47], s[4:5]
	s_xor_b64 s[4:5], exec, s[46:47]
	s_cbranch_execz .LBB1_271
; %bb.270:                              ;   in Loop: Header=BB1_6 Depth=2
	v_add_u32_e32 v11, 1, v9
	v_add_u32_e32 v8, 1, v8
	global_store_dword v[24:25], v54, off offset:16
                                        ; implicit-def: $vgpr55
                                        ; implicit-def: $vgpr9
.LBB1_271:                              ;   in Loop: Header=BB1_6 Depth=2
	s_andn2_saveexec_b64 s[4:5], s[4:5]
	s_cbranch_execz .LBB1_273
; %bb.272:                              ;   in Loop: Header=BB1_6 Depth=2
	v_add_u32_e32 v8, 1, v8
	v_mov_b32_e32 v11, v9
	global_store_dword v[24:25], v55, off offset:16
.LBB1_273:                              ;   in Loop: Header=BB1_6 Depth=2
	s_or_b64 exec, exec, s[4:5]
                                        ; implicit-def: $vgpr9
                                        ; implicit-def: $vgpr54
.LBB1_274:                              ;   in Loop: Header=BB1_6 Depth=2
	s_andn2_saveexec_b64 s[4:5], s[44:45]
	s_cbranch_execz .LBB1_276
; %bb.275:                              ;   in Loop: Header=BB1_6 Depth=2
	v_add_u32_e32 v11, 1, v9
	global_store_dword v[24:25], v54, off offset:16
.LBB1_276:                              ;   in Loop: Header=BB1_6 Depth=2
	s_or_b64 exec, exec, s[4:5]
                                        ; implicit-def: $vgpr55
.LBB1_277:                              ;   in Loop: Header=BB1_6 Depth=2
	s_andn2_saveexec_b64 s[4:5], s[42:43]
	s_cbranch_execz .LBB1_279
; %bb.278:                              ;   in Loop: Header=BB1_6 Depth=2
	ds_read_b32 v9, v55
	v_add_u32_e32 v8, 1, v8
	v_mov_b32_e32 v11, v28
	s_waitcnt lgkmcnt(0)
	global_store_dword v[24:25], v9, off offset:16
.LBB1_279:                              ;   in Loop: Header=BB1_6 Depth=2
	s_or_b64 exec, exec, s[4:5]
	s_mov_b64 s[42:43], exec
                                        ; implicit-def: $vgpr9
.LBB1_280:                              ;   in Loop: Header=BB1_6 Depth=2
	s_or_saveexec_b64 s[4:5], s[40:41]
	s_mov_b64 s[40:41], s[36:37]
                                        ; implicit-def: $sgpr46
	s_xor_b64 exec, exec, s[4:5]
	s_cbranch_execz .LBB1_284
; %bb.281:                              ;   in Loop: Header=BB1_6 Depth=2
	s_mov_b64 s[40:41], -1
	s_mov_b64 s[44:45], s[42:43]
                                        ; implicit-def: $vgpr11
	s_and_saveexec_b64 s[46:47], vcc
	s_cbranch_execz .LBB1_283
; %bb.282:                              ;   in Loop: Header=BB1_6 Depth=2
	v_lshl_add_u32 v8, v9, 2, v34
	buffer_load_dword v8, v8, s[0:3], 0 offen
	v_add_u32_e32 v11, 1, v9
	s_xor_b64 s[40:41], exec, -1
	s_or_b64 s[44:45], s[42:43], exec
	s_waitcnt vmcnt(0)
	global_store_dword v[24:25], v8, off offset:16
.LBB1_283:                              ;   in Loop: Header=BB1_6 Depth=2
	s_or_b64 exec, exec, s[46:47]
	s_andn2_b64 s[48:49], s[36:37], exec
	s_and_b64 s[40:41], s[40:41], exec
	s_andn2_b64 s[42:43], s[42:43], exec
	s_and_b64 s[44:45], s[44:45], exec
	s_brev_b32 s46, 24
	s_or_b64 s[40:41], s[48:49], s[40:41]
	s_or_b64 s[42:43], s[42:43], s[44:45]
	v_mov_b32_e32 v8, v26
.LBB1_284:                              ;   in Loop: Header=BB1_6 Depth=2
	s_or_b64 exec, exec, s[4:5]
	v_mov_b32_e32 v55, s46
                                        ; implicit-def: $sgpr46
	s_and_saveexec_b64 s[44:45], s[42:43]
	s_cbranch_execz .LBB1_288
; %bb.285:                              ;   in Loop: Header=BB1_6 Depth=2
	v_cmp_lt_u32_e32 vcc, v11, v28
	v_cmp_lt_u32_e64 s[4:5], v8, v26
	s_or_b64 s[48:49], vcc, s[4:5]
	s_mov_b64 s[4:5], -1
                                        ; implicit-def: $sgpr46
	s_and_saveexec_b64 s[42:43], s[48:49]
; %bb.286:                              ;   in Loop: Header=BB1_6 Depth=2
	s_mov_b32 s46, 7
	s_xor_b64 s[4:5], exec, -1
; %bb.287:                              ;   in Loop: Header=BB1_6 Depth=2
	s_or_b64 exec, exec, s[42:43]
	s_andn2_b64 s[40:41], s[40:41], exec
	s_and_b64 s[4:5], s[4:5], exec
	v_bfrev_b32_e32 v55, 4
	s_or_b64 s[40:41], s[40:41], s[4:5]
.LBB1_288:                              ;   in Loop: Header=BB1_6 Depth=2
	s_or_b64 exec, exec, s[44:45]
	s_andn2_b64 s[4:5], s[36:37], exec
	s_and_b64 s[36:37], s[40:41], exec
	s_or_b64 s[36:37], s[4:5], s[36:37]
.LBB1_289:                              ;   in Loop: Header=BB1_6 Depth=2
	s_or_b64 exec, exec, s[38:39]
	s_andn2_b64 s[4:5], s[30:31], exec
	s_and_b64 s[30:31], s[36:37], exec
	s_or_b64 s[30:31], s[4:5], s[30:31]
.LBB1_290:                              ;   in Loop: Header=BB1_6 Depth=2
	s_or_b64 exec, exec, s[34:35]
	s_andn2_b64 s[4:5], s[8:9], exec
	s_and_b64 s[8:9], s[30:31], exec
	s_or_b64 s[8:9], s[4:5], s[8:9]
.LBB1_291:                              ;   in Loop: Header=BB1_6 Depth=2
	s_or_b64 exec, exec, s[10:11]
	s_mov_b64 s[4:5], 0
                                        ; implicit-def: $vgpr54
	s_and_saveexec_b64 s[10:11], s[8:9]
	s_cbranch_execz .LBB1_293
; %bb.292:                              ;   in Loop: Header=BB1_6 Depth=2
	global_load_dword v8, v[24:25], off offset:20
	s_mov_b64 s[4:5], exec
	s_waitcnt vmcnt(0)
	v_and_or_b32 v54, v8, s75, v55
	global_store_dword v[24:25], v54, off offset:20
.LBB1_293:                              ;   in Loop: Header=BB1_6 Depth=2
	s_or_b64 exec, exec, s[10:11]
	s_and_b64 s[8:9], s[4:5], exec
	s_or_saveexec_b64 s[10:11], s[6:7]
	v_mov_b32_e32 v8, s46
	s_xor_b64 exec, exec, s[10:11]
	s_cbranch_execnz .LBB1_160
.LBB1_294:                              ;   in Loop: Header=BB1_6 Depth=2
	s_or_b64 exec, exec, s[10:11]
	s_and_saveexec_b64 s[30:31], s[8:9]
	s_cbranch_execz .LBB1_526
.LBB1_295:                              ;   in Loop: Header=BB1_6 Depth=2
	v_bfe_u32 v4, v54, 27, 4
	s_mov_b32 s78, 0
	v_cmp_ne_u32_e32 vcc, 0, v4
	s_mov_b64 s[42:43], -1
	s_mov_b64 s[38:39], 0
	global_store_dword v[24:25], v10, off
	global_store_byte v[24:25], v30, off offset:24
                                        ; implicit-def: $sgpr36_sgpr37
                                        ; implicit-def: $sgpr34_sgpr35
                                        ; implicit-def: $sgpr40_sgpr41
                                        ; implicit-def: $sgpr46_sgpr47
                                        ; implicit-def: $sgpr44_sgpr45
	s_branch .LBB1_297
.LBB1_296:                              ;   in Loop: Header=BB1_297 Depth=3
	s_or_b64 exec, exec, s[10:11]
	s_and_b64 s[4:5], exec, s[8:9]
	s_or_b64 s[38:39], s[4:5], s[38:39]
	s_andn2_b64 s[4:5], s[40:41], exec
	s_and_b64 s[8:9], s[44:45], exec
	s_or_b64 s[40:41], s[4:5], s[8:9]
	s_andn2_b64 s[4:5], s[34:35], exec
	s_and_b64 s[6:7], s[6:7], exec
	;; [unrolled: 3-line block ×3, first 2 shown]
	s_or_b64 s[36:37], s[4:5], s[6:7]
	s_andn2_b64 exec, exec, s[38:39]
	s_cbranch_execz .LBB1_332
.LBB1_297:                              ;   Parent Loop BB1_3 Depth=1
                                        ;     Parent Loop BB1_6 Depth=2
                                        ; =>    This Loop Header: Depth=3
                                        ;         Child Loop BB1_304 Depth 4
                                        ;           Child Loop BB1_306 Depth 5
                                        ;         Child Loop BB1_318 Depth 4
                                        ;           Child Loop BB1_320 Depth 5
	v_cmp_eq_u32_e64 s[4:5], s78, v51
	v_cmp_ne_u32_e64 s[6:7], s78, v51
                                        ; implicit-def: $sgpr52_sgpr53
	s_and_saveexec_b64 s[48:49], s[6:7]
	s_cbranch_execz .LBB1_330
; %bb.298:                              ;   in Loop: Header=BB1_297 Depth=3
	v_mad_u64_u32 v[8:9], s[6:7], s78, 28, v[12:13]
	global_load_ubyte v11, v[8:9], off offset:24
	s_mov_b64 s[8:9], -1
                                        ; implicit-def: $sgpr52_sgpr53
	s_waitcnt vmcnt(0)
	v_and_b32_e32 v0, 1, v11
	v_cmp_eq_u32_e64 s[6:7], 1, v0
	s_and_saveexec_b64 s[50:51], s[6:7]
	s_cbranch_execz .LBB1_329
; %bb.299:                              ;   in Loop: Header=BB1_297 Depth=3
	global_load_dword v55, v[8:9], off offset:20
	global_load_dword v57, v[8:9], off
	s_mov_b64 s[54:55], 0
                                        ; implicit-def: $sgpr52_sgpr53
	s_waitcnt vmcnt(1)
	v_bfe_u32 v0, v55, 27, 4
	s_waitcnt vmcnt(0)
	v_and_b32_e32 v56, v10, v57
	v_cmp_le_u32_e64 s[6:7], v0, v4
	s_and_saveexec_b64 s[8:9], s[6:7]
	s_xor_b64 s[56:57], exec, s[8:9]
	s_cbranch_execz .LBB1_313
; %bb.300:                              ;   in Loop: Header=BB1_297 Depth=3
	v_cmp_eq_u32_e64 s[6:7], v56, v57
	s_mov_b64 s[8:9], -1
                                        ; implicit-def: $sgpr52_sgpr53
	s_and_saveexec_b64 s[54:55], s[6:7]
	s_cbranch_execz .LBB1_312
; %bb.301:                              ;   in Loop: Header=BB1_297 Depth=3
	global_load_dwordx3 v[64:66], v[24:25], off offset:16
	global_load_dwordx4 v[56:59], v[24:25], off
	global_load_dwordx4 v[60:63], v[8:9], off offset:4
	v_cmp_ne_u32_e64 s[6:7], 0, v0
	v_mov_b32_e32 v8, 1
	buffer_store_dword v55, off, s[0:3], 0 offset:20
	buffer_store_byte v11, off, s[0:3], 0 offset:24
	s_waitcnt vmcnt(4)
	buffer_store_dword v64, off, s[0:3], 0 offset:44
	buffer_store_dword v65, off, s[0:3], 0 offset:48
	;; [unrolled: 1-line block ×3, first 2 shown]
	s_waitcnt vmcnt(6)
	buffer_store_dword v59, off, s[0:3], 0 offset:40
	buffer_store_dword v58, off, s[0:3], 0 offset:36
	;; [unrolled: 1-line block ×4, first 2 shown]
	s_waitcnt vmcnt(9)
	buffer_store_dword v61, off, s[0:3], 0 offset:8
	buffer_store_dword v60, off, s[0:3], 0 offset:4
	;; [unrolled: 1-line block ×4, first 2 shown]
	s_and_saveexec_b64 s[52:53], s[6:7]
	s_cbranch_execz .LBB1_311
; %bb.302:                              ;   in Loop: Header=BB1_297 Depth=3
	buffer_load_dword v8, off, s[0:3], 0 offset:48
	s_mov_b32 s68, 0
	s_mov_b64 s[64:65], 0
	s_mov_b64 s[58:59], 0
                                        ; implicit-def: $sgpr60_sgpr61
                                        ; implicit-def: $sgpr62_sgpr63
	s_waitcnt vmcnt(0)
	v_bfe_u32 v8, v8, 27, 4
	v_cmp_ne_u32_e64 s[6:7], 0, v8
	s_branch .LBB1_304
.LBB1_303:                              ;   in Loop: Header=BB1_304 Depth=4
	s_or_b64 exec, exec, s[66:67]
	s_and_b64 s[8:9], exec, s[10:11]
	s_or_b64 s[58:59], s[8:9], s[58:59]
	s_andn2_b64 s[8:9], s[60:61], exec
	s_and_b64 s[10:11], s[62:63], exec
	s_or_b64 s[60:61], s[8:9], s[10:11]
	s_andn2_b64 exec, exec, s[58:59]
	s_cbranch_execz .LBB1_310
.LBB1_304:                              ;   Parent Loop BB1_3 Depth=1
                                        ;     Parent Loop BB1_6 Depth=2
                                        ;       Parent Loop BB1_297 Depth=3
                                        ; =>      This Loop Header: Depth=4
                                        ;           Child Loop BB1_306 Depth 5
	v_mov_b32_e32 v9, 0
	s_and_saveexec_b64 s[10:11], s[6:7]
	s_cbranch_execz .LBB1_308
; %bb.305:                              ;   in Loop: Header=BB1_304 Depth=4
	s_lshl_b32 s8, s68, 2
	v_add_u32_e32 v9, s8, v37
	buffer_load_dword v11, v9, s[0:3], 0 offen
	s_mov_b64 s[66:67], 0
	v_mov_b32_e32 v9, 0
	v_mov_b32_e32 v55, v8
	;; [unrolled: 1-line block ×3, first 2 shown]
.LBB1_306:                              ;   Parent Loop BB1_3 Depth=1
                                        ;     Parent Loop BB1_6 Depth=2
                                        ;       Parent Loop BB1_297 Depth=3
                                        ;         Parent Loop BB1_304 Depth=4
                                        ; =>        This Inner Loop Header: Depth=5
	buffer_load_dword v57, v56, s[0:3], 0 offen
	v_add_u32_e32 v55, -1, v55
	v_cmp_eq_u32_e64 s[8:9], 0, v55
	s_or_b64 s[66:67], s[8:9], s[66:67]
	v_add_u32_e32 v56, 4, v56
	s_waitcnt vmcnt(0)
	v_cmp_ne_u32_e64 s[8:9], v57, v11
	v_cndmask_b32_e64 v9, 1, v9, s[8:9]
	s_andn2_b64 exec, exec, s[66:67]
	s_cbranch_execnz .LBB1_306
; %bb.307:                              ;   in Loop: Header=BB1_304 Depth=4
	s_or_b64 exec, exec, s[66:67]
.LBB1_308:                              ;   in Loop: Header=BB1_304 Depth=4
	s_or_b64 exec, exec, s[10:11]
	s_andn2_b64 s[62:63], s[62:63], exec
	s_and_b64 s[64:65], s[64:65], exec
	v_cmp_ne_u32_e64 s[8:9], 0, v9
	s_mov_b64 s[10:11], -1
	s_or_b64 s[62:63], s[62:63], s[64:65]
                                        ; implicit-def: $sgpr64_sgpr65
	s_and_saveexec_b64 s[66:67], s[8:9]
	s_cbranch_execz .LBB1_303
; %bb.309:                              ;   in Loop: Header=BB1_304 Depth=4
	s_add_i32 s68, s68, 1
	v_cmp_ge_u32_e64 s[8:9], s68, v0
	v_cmp_eq_u32_e64 s[10:11], s68, v0
	s_and_b64 s[64:65], s[8:9], exec
	s_andn2_b64 s[8:9], s[62:63], exec
	s_or_b64 s[62:63], s[8:9], s[64:65]
	s_orn2_b64 s[10:11], s[10:11], exec
	s_branch .LBB1_303
.LBB1_310:                              ;   in Loop: Header=BB1_297 Depth=3
	s_or_b64 exec, exec, s[58:59]
	v_cndmask_b32_e64 v8, 0, 1, s[60:61]
.LBB1_311:                              ;   in Loop: Header=BB1_297 Depth=3
	s_or_b64 exec, exec, s[52:53]
	v_cmp_eq_u32_e64 s[6:7], 0, v8
	s_mov_b64 s[52:53], -1
	s_orn2_b64 s[8:9], s[6:7], exec
.LBB1_312:                              ;   in Loop: Header=BB1_297 Depth=3
	s_or_b64 exec, exec, s[54:55]
	s_and_b64 s[54:55], s[8:9], exec
                                        ; implicit-def: $vgpr56
                                        ; implicit-def: $vgpr8_vgpr9
.LBB1_313:                              ;   in Loop: Header=BB1_297 Depth=3
	s_andn2_saveexec_b64 s[56:57], s[56:57]
	s_cbranch_execz .LBB1_328
; %bb.314:                              ;   in Loop: Header=BB1_297 Depth=3
	v_cmp_eq_u32_e64 s[6:7], v56, v10
	s_and_saveexec_b64 s[58:59], s[6:7]
	s_cbranch_execz .LBB1_327
; %bb.315:                              ;   in Loop: Header=BB1_297 Depth=3
	global_load_dwordx3 v[64:66], v[8:9], off offset:16
	global_load_dwordx4 v[56:59], v[8:9], off
	global_load_dwordx4 v[60:63], v[24:25], off offset:4
	global_load_ubyte v0, v[24:25], off offset:24
	s_nop 0
	buffer_store_dword v54, off, s[0:3], 0 offset:20
	s_waitcnt vmcnt(4)
	buffer_store_dword v64, off, s[0:3], 0 offset:44
	buffer_store_dword v65, off, s[0:3], 0 offset:48
	;; [unrolled: 1-line block ×3, first 2 shown]
	s_waitcnt vmcnt(6)
	buffer_store_dword v59, off, s[0:3], 0 offset:40
	buffer_store_dword v58, off, s[0:3], 0 offset:36
	;; [unrolled: 1-line block ×4, first 2 shown]
	s_waitcnt vmcnt(9)
	buffer_store_dword v61, off, s[0:3], 0 offset:8
	buffer_store_dword v60, off, s[0:3], 0 offset:4
	;; [unrolled: 1-line block ×4, first 2 shown]
	s_waitcnt vmcnt(12)
	buffer_store_byte v0, off, s[0:3], 0 offset:24
	v_mov_b32_e32 v0, 1
	s_and_saveexec_b64 s[60:61], vcc
	s_cbranch_execz .LBB1_325
; %bb.316:                              ;   in Loop: Header=BB1_297 Depth=3
	buffer_load_dword v0, off, s[0:3], 0 offset:48
	s_mov_b32 s79, 0
	s_mov_b64 s[68:69], 0
	s_mov_b64 s[62:63], 0
                                        ; implicit-def: $sgpr64_sgpr65
                                        ; implicit-def: $sgpr66_sgpr67
	s_waitcnt vmcnt(0)
	v_bfe_u32 v0, v0, 27, 4
	v_cmp_ne_u32_e64 s[6:7], 0, v0
	s_branch .LBB1_318
.LBB1_317:                              ;   in Loop: Header=BB1_318 Depth=4
	s_or_b64 exec, exec, s[70:71]
	s_and_b64 s[8:9], exec, s[10:11]
	s_or_b64 s[62:63], s[8:9], s[62:63]
	s_andn2_b64 s[8:9], s[64:65], exec
	s_and_b64 s[10:11], s[66:67], exec
	s_or_b64 s[64:65], s[8:9], s[10:11]
	s_andn2_b64 exec, exec, s[62:63]
	s_cbranch_execz .LBB1_324
.LBB1_318:                              ;   Parent Loop BB1_3 Depth=1
                                        ;     Parent Loop BB1_6 Depth=2
                                        ;       Parent Loop BB1_297 Depth=3
                                        ; =>      This Loop Header: Depth=4
                                        ;           Child Loop BB1_320 Depth 5
	v_mov_b32_e32 v11, 0
	s_and_saveexec_b64 s[10:11], s[6:7]
	s_cbranch_execz .LBB1_322
; %bb.319:                              ;   in Loop: Header=BB1_318 Depth=4
	s_lshl_b32 s8, s79, 2
	v_add_u32_e32 v11, s8, v37
	buffer_load_dword v55, v11, s[0:3], 0 offen
	s_mov_b64 s[70:71], 0
	v_mov_b32_e32 v11, 0
	v_mov_b32_e32 v56, v0
	;; [unrolled: 1-line block ×3, first 2 shown]
.LBB1_320:                              ;   Parent Loop BB1_3 Depth=1
                                        ;     Parent Loop BB1_6 Depth=2
                                        ;       Parent Loop BB1_297 Depth=3
                                        ;         Parent Loop BB1_318 Depth=4
                                        ; =>        This Inner Loop Header: Depth=5
	buffer_load_dword v58, v57, s[0:3], 0 offen
	v_add_u32_e32 v56, -1, v56
	v_cmp_eq_u32_e64 s[8:9], 0, v56
	s_or_b64 s[70:71], s[8:9], s[70:71]
	v_add_u32_e32 v57, 4, v57
	s_waitcnt vmcnt(0)
	v_cmp_ne_u32_e64 s[8:9], v58, v55
	v_cndmask_b32_e64 v11, 1, v11, s[8:9]
	s_andn2_b64 exec, exec, s[70:71]
	s_cbranch_execnz .LBB1_320
; %bb.321:                              ;   in Loop: Header=BB1_318 Depth=4
	s_or_b64 exec, exec, s[70:71]
.LBB1_322:                              ;   in Loop: Header=BB1_318 Depth=4
	s_or_b64 exec, exec, s[10:11]
	s_andn2_b64 s[66:67], s[66:67], exec
	s_and_b64 s[68:69], s[68:69], exec
	v_cmp_ne_u32_e64 s[8:9], 0, v11
	s_mov_b64 s[10:11], -1
	s_or_b64 s[66:67], s[66:67], s[68:69]
                                        ; implicit-def: $sgpr68_sgpr69
	s_and_saveexec_b64 s[70:71], s[8:9]
	s_cbranch_execz .LBB1_317
; %bb.323:                              ;   in Loop: Header=BB1_318 Depth=4
	s_add_i32 s79, s79, 1
	v_cmp_ge_u32_e64 s[8:9], s79, v4
	v_cmp_eq_u32_e64 s[10:11], s79, v4
	s_and_b64 s[68:69], s[8:9], exec
	s_andn2_b64 s[8:9], s[66:67], exec
	s_or_b64 s[66:67], s[8:9], s[68:69]
	s_orn2_b64 s[10:11], s[10:11], exec
	s_branch .LBB1_317
.LBB1_324:                              ;   in Loop: Header=BB1_297 Depth=3
	s_or_b64 exec, exec, s[62:63]
	v_cndmask_b32_e64 v0, 0, 1, s[64:65]
.LBB1_325:                              ;   in Loop: Header=BB1_297 Depth=3
	s_or_b64 exec, exec, s[60:61]
	v_cmp_ne_u32_e64 s[6:7], 0, v0
	s_and_b64 exec, exec, s[6:7]
	s_cbranch_execz .LBB1_327
; %bb.326:                              ;   in Loop: Header=BB1_297 Depth=3
	global_store_byte v[8:9], v32, off offset:24
.LBB1_327:                              ;   in Loop: Header=BB1_297 Depth=3
	s_or_b64 exec, exec, s[58:59]
	s_or_b64 s[54:55], s[54:55], exec
.LBB1_328:                              ;   in Loop: Header=BB1_297 Depth=3
	s_or_b64 exec, exec, s[56:57]
	s_orn2_b64 s[8:9], s[54:55], exec
.LBB1_329:                              ;   in Loop: Header=BB1_297 Depth=3
	s_or_b64 exec, exec, s[50:51]
	s_andn2_b64 s[4:5], s[4:5], exec
	s_and_b64 s[6:7], s[8:9], exec
	s_or_b64 s[4:5], s[4:5], s[6:7]
.LBB1_330:                              ;   in Loop: Header=BB1_297 Depth=3
	s_or_b64 exec, exec, s[48:49]
	s_andn2_b64 s[6:7], s[44:45], exec
	s_and_b64 s[10:11], s[52:53], exec
	s_or_b64 s[44:45], s[6:7], s[10:11]
	s_andn2_b64 s[6:7], s[46:47], exec
	s_and_b64 s[10:11], s[42:43], exec
	s_mov_b64 s[8:9], -1
	s_or_b64 s[46:47], s[6:7], s[10:11]
                                        ; implicit-def: $sgpr6_sgpr7
	s_and_saveexec_b64 s[10:11], s[4:5]
	s_cbranch_execz .LBB1_296
; %bb.331:                              ;   in Loop: Header=BB1_297 Depth=3
	s_add_i32 s48, s78, 1
	s_cmp_lt_u32 s78, 7
	s_cselect_b64 s[6:7], -1, 0
	s_cmp_eq_u32 s48, 8
	s_cselect_b64 s[4:5], -1, 0
	s_andn2_b64 s[8:9], s[46:47], exec
	s_and_b64 s[42:43], s[42:43], exec
	s_andn2_b64 s[44:45], s[44:45], exec
	s_or_b64 s[46:47], s[8:9], s[42:43]
	s_orn2_b64 s[8:9], s[4:5], exec
	s_mov_b32 s78, s48
	s_mov_b64 s[42:43], s[6:7]
	s_branch .LBB1_296
.LBB1_332:                              ;   in Loop: Header=BB1_6 Depth=2
	s_or_b64 exec, exec, s[38:39]
	s_and_saveexec_b64 s[4:5], s[40:41]
	s_xor_b64 s[4:5], exec, s[4:5]
	s_cbranch_execz .LBB1_334
; %bb.333:                              ;   in Loop: Header=BB1_6 Depth=2
	s_andn2_b64 s[6:7], s[34:35], exec
	s_and_b64 s[8:9], s[36:37], exec
	s_or_b64 s[34:35], s[6:7], s[8:9]
	global_store_byte v[24:25], v32, off offset:24
.LBB1_334:                              ;   in Loop: Header=BB1_6 Depth=2
	s_or_b64 exec, exec, s[4:5]
	s_xor_b64 s[4:5], s[34:35], -1
	v_mov_b32_e32 v8, 7
	s_and_saveexec_b64 s[34:35], s[4:5]
	s_cbranch_execz .LBB1_525
; %bb.335:                              ;   in Loop: Header=BB1_6 Depth=2
	global_load_dwordx4 v[8:11], v[24:25], off offset:4
	global_load_ubyte v56, v[24:25], off offset:24
	global_load_dword v57, v[18:19], off offset:4
	global_load_dword v55, v[20:21], off offset:4
	v_mov_b32_e32 v0, 0
	buffer_store_dword v6, off, s[0:3], 0 offset:8
	buffer_store_dword v5, off, s[0:3], 0 offset:4
	;; [unrolled: 1-line block ×5, first 2 shown]
	s_waitcnt vmcnt(11)
	buffer_store_byte v53, off, s[0:3], 0 offset:24
	buffer_store_dword v54, off, s[0:3], 0 offset:48
	s_waitcnt vmcnt(10)
	buffer_store_dword v9, off, s[0:3], 0 offset:36
	buffer_store_dword v8, off, s[0:3], 0 offset:32
	;; [unrolled: 1-line block ×4, first 2 shown]
	s_waitcnt vmcnt(13)
	buffer_store_byte v56, off, s[0:3], 0 offset:52
	s_and_saveexec_b64 s[8:9], vcc
	s_cbranch_execz .LBB1_343
; %bb.336:                              ;   in Loop: Header=BB1_6 Depth=2
	s_mov_b32 s40, 0
	v_cmp_ne_u32_e64 s[4:5], 0, v28
	s_mov_b64 s[10:11], 0
	v_mov_b32_e32 v0, 0
	s_branch .LBB1_338
.LBB1_337:                              ;   in Loop: Header=BB1_338 Depth=3
	s_or_b64 exec, exec, s[36:37]
	s_add_i32 s40, s40, 1
	v_cmp_eq_u32_e64 s[6:7], s40, v4
	s_or_b64 s[10:11], s[6:7], s[10:11]
	s_andn2_b64 exec, exec, s[10:11]
	s_cbranch_execz .LBB1_342
.LBB1_338:                              ;   Parent Loop BB1_3 Depth=1
                                        ;     Parent Loop BB1_6 Depth=2
                                        ; =>    This Loop Header: Depth=3
                                        ;         Child Loop BB1_340 Depth 4
	s_and_saveexec_b64 s[36:37], s[4:5]
	s_cbranch_execz .LBB1_337
; %bb.339:                              ;   in Loop: Header=BB1_338 Depth=3
	s_lshl_b32 s6, s40, 2
	v_add_u32_e32 v5, s6, v38
	buffer_load_dword v5, v5, s[0:3], 0 offen
	s_lshl_b32 s41, 1, s40
	s_mov_b64 s[38:39], 0
	v_mov_b32_e32 v6, v28
	v_mov_b32_e32 v7, v37
.LBB1_340:                              ;   Parent Loop BB1_3 Depth=1
                                        ;     Parent Loop BB1_6 Depth=2
                                        ;       Parent Loop BB1_338 Depth=3
                                        ; =>      This Inner Loop Header: Depth=4
	buffer_load_dword v33, v7, s[0:3], 0 offen
	v_add_u32_e32 v6, -1, v6
	v_cmp_eq_u32_e64 s[6:7], 0, v6
	v_mov_b32_e32 v53, s41
	s_or_b64 s[38:39], s[6:7], s[38:39]
	v_add_u32_e32 v7, 4, v7
	s_waitcnt vmcnt(0)
	v_cmp_eq_u32_e64 s[6:7], v33, v5
	v_cndmask_b32_e64 v33, 0, v53, s[6:7]
	v_or_b32_e32 v0, v33, v0
	s_andn2_b64 exec, exec, s[38:39]
	s_cbranch_execnz .LBB1_340
; %bb.341:                              ;   in Loop: Header=BB1_338 Depth=3
	s_or_b64 exec, exec, s[38:39]
	s_branch .LBB1_337
.LBB1_342:                              ;   in Loop: Header=BB1_6 Depth=2
	s_or_b64 exec, exec, s[10:11]
.LBB1_343:                              ;   in Loop: Header=BB1_6 Depth=2
	s_or_b64 exec, exec, s[8:9]
	s_waitcnt vmcnt(13)
	v_cmp_ne_u32_e64 s[4:5], 0, v57
	v_cndmask_b32_e64 v5, 0, -1, s[4:5]
	v_and_b32_e32 v7, 8, v0
	v_xor_b32_e32 v6, v29, v5
	v_add_u32_e32 v5, -1, v28
	v_cmp_ne_u32_e64 s[4:5], 0, v7
	s_and_saveexec_b64 s[6:7], s[4:5]
	s_cbranch_execz .LBB1_359
; %bb.344:                              ;   in Loop: Header=BB1_6 Depth=2
	v_cmp_gt_u32_e64 s[4:5], 4, v28
	s_and_saveexec_b64 s[8:9], s[4:5]
	s_cbranch_execz .LBB1_358
; %bb.345:                              ;   in Loop: Header=BB1_6 Depth=2
	s_mov_b64 s[10:11], 0
	s_branch .LBB1_348
.LBB1_346:                              ;   in Loop: Header=BB1_348 Depth=3
	s_or_b64 exec, exec, s[38:39]
.LBB1_347:                              ;   in Loop: Header=BB1_348 Depth=3
	s_or_b64 exec, exec, s[36:37]
	v_add_u32_e32 v7, 1, v5
	v_cmp_lt_i32_e64 s[4:5], 1, v5
	s_or_b64 s[10:11], s[4:5], s[10:11]
	v_mov_b32_e32 v5, v7
	s_andn2_b64 exec, exec, s[10:11]
	s_cbranch_execz .LBB1_357
.LBB1_348:                              ;   Parent Loop BB1_3 Depth=1
                                        ;     Parent Loop BB1_6 Depth=2
                                        ; =>    This Inner Loop Header: Depth=3
	v_cmp_lt_i32_e64 s[4:5], 0, v5
	v_mov_b32_e32 v7, v6
	s_and_saveexec_b64 s[36:37], s[4:5]
	s_xor_b64 s[36:37], exec, s[36:37]
	s_cbranch_execz .LBB1_354
; %bb.349:                              ;   in Loop: Header=BB1_348 Depth=3
	v_cmp_lt_i32_e64 s[4:5], 1, v5
	s_and_saveexec_b64 s[38:39], s[4:5]
	s_xor_b64 s[4:5], exec, s[38:39]
; %bb.350:                              ;   in Loop: Header=BB1_348 Depth=3
	v_and_b32_e32 v7, 0xf00ff00f, v6
	v_lshlrev_b32_e32 v29, 4, v6
	v_lshrrev_b32_e32 v6, 4, v6
	v_and_b32_e32 v29, 0xf000f00, v29
	v_and_b32_e32 v6, 0xf000f0, v6
	v_or3_b32 v6, v29, v7, v6
; %bb.351:                              ;   in Loop: Header=BB1_348 Depth=3
	s_andn2_saveexec_b64 s[4:5], s[4:5]
; %bb.352:                              ;   in Loop: Header=BB1_348 Depth=3
	v_and_b32_e32 v7, 0xc3c3c3c3, v6
	v_lshlrev_b32_e32 v29, 2, v6
	v_lshrrev_b32_e32 v6, 2, v6
	v_and_b32_e32 v29, 0x30303030, v29
	v_and_b32_e32 v6, 0xc0c0c0c, v6
	v_or3_b32 v6, v29, v7, v6
; %bb.353:                              ;   in Loop: Header=BB1_348 Depth=3
	s_or_b64 exec, exec, s[4:5]
                                        ; implicit-def: $vgpr7
.LBB1_354:                              ;   in Loop: Header=BB1_348 Depth=3
	s_andn2_saveexec_b64 s[36:37], s[36:37]
	s_cbranch_execz .LBB1_347
; %bb.355:                              ;   in Loop: Header=BB1_348 Depth=3
	v_cmp_eq_u32_e64 s[4:5], 0, v5
	v_mov_b32_e32 v6, 0
	s_and_saveexec_b64 s[38:39], s[4:5]
	s_cbranch_execz .LBB1_346
; %bb.356:                              ;   in Loop: Header=BB1_348 Depth=3
	v_and_b32_e32 v6, 0x99999999, v7
	v_lshlrev_b32_e32 v29, 1, v7
	v_lshrrev_b32_e32 v7, 1, v7
	v_and_b32_e32 v29, 0x44444444, v29
	v_and_b32_e32 v7, 0x22222222, v7
	v_or3_b32 v6, v29, v6, v7
	s_branch .LBB1_346
.LBB1_357:                              ;   in Loop: Header=BB1_6 Depth=2
	s_or_b64 exec, exec, s[10:11]
.LBB1_358:                              ;   in Loop: Header=BB1_6 Depth=2
	s_or_b64 exec, exec, s[8:9]
	v_add_u32_e32 v5, -2, v28
.LBB1_359:                              ;   in Loop: Header=BB1_6 Depth=2
	s_or_b64 exec, exec, s[6:7]
	v_and_b32_e32 v7, 4, v0
	v_cmp_ne_u32_e64 s[4:5], 0, v7
	s_and_saveexec_b64 s[6:7], s[4:5]
	s_cbranch_execz .LBB1_371
; %bb.360:                              ;   in Loop: Header=BB1_6 Depth=2
	v_cmp_gt_i32_e64 s[4:5], 2, v5
	s_and_saveexec_b64 s[8:9], s[4:5]
	s_cbranch_execz .LBB1_370
; %bb.361:                              ;   in Loop: Header=BB1_6 Depth=2
	s_mov_b64 s[10:11], 0
	v_mov_b32_e32 v7, v5
	s_branch .LBB1_364
.LBB1_362:                              ;   in Loop: Header=BB1_364 Depth=3
	s_or_b64 exec, exec, s[38:39]
.LBB1_363:                              ;   in Loop: Header=BB1_364 Depth=3
	s_or_b64 exec, exec, s[36:37]
	v_add_u32_e32 v28, 1, v7
	v_cmp_lt_i32_e64 s[4:5], 0, v7
	s_or_b64 s[10:11], s[4:5], s[10:11]
	v_mov_b32_e32 v7, v28
	s_andn2_b64 exec, exec, s[10:11]
	s_cbranch_execz .LBB1_369
.LBB1_364:                              ;   Parent Loop BB1_3 Depth=1
                                        ;     Parent Loop BB1_6 Depth=2
                                        ; =>    This Inner Loop Header: Depth=3
	v_cmp_lt_i32_e64 s[4:5], 0, v7
	v_mov_b32_e32 v28, v6
	s_and_saveexec_b64 s[36:37], s[4:5]
	s_xor_b64 s[4:5], exec, s[36:37]
; %bb.365:                              ;   in Loop: Header=BB1_364 Depth=3
	v_and_b32_e32 v28, 0xc3c3c3c3, v6
	v_lshlrev_b32_e32 v29, 2, v6
	v_lshrrev_b32_e32 v6, 2, v6
	v_and_b32_e32 v29, 0x30303030, v29
	v_and_b32_e32 v6, 0xc0c0c0c, v6
	v_or3_b32 v6, v29, v28, v6
                                        ; implicit-def: $vgpr28
; %bb.366:                              ;   in Loop: Header=BB1_364 Depth=3
	s_andn2_saveexec_b64 s[36:37], s[4:5]
	s_cbranch_execz .LBB1_363
; %bb.367:                              ;   in Loop: Header=BB1_364 Depth=3
	v_cmp_eq_u32_e64 s[4:5], 0, v7
	v_mov_b32_e32 v6, 0
	s_and_saveexec_b64 s[38:39], s[4:5]
	s_cbranch_execz .LBB1_362
; %bb.368:                              ;   in Loop: Header=BB1_364 Depth=3
	v_and_b32_e32 v6, 0x99999999, v28
	v_lshlrev_b32_e32 v29, 1, v28
	v_lshrrev_b32_e32 v28, 1, v28
	v_and_b32_e32 v29, 0x44444444, v29
	v_and_b32_e32 v28, 0x22222222, v28
	v_or3_b32 v6, v29, v6, v28
	s_branch .LBB1_362
.LBB1_369:                              ;   in Loop: Header=BB1_6 Depth=2
	s_or_b64 exec, exec, s[10:11]
.LBB1_370:                              ;   in Loop: Header=BB1_6 Depth=2
	s_or_b64 exec, exec, s[8:9]
	v_add_u32_e32 v5, -1, v5
.LBB1_371:                              ;   in Loop: Header=BB1_6 Depth=2
	s_or_b64 exec, exec, s[6:7]
	v_and_b32_e32 v7, 2, v0
	v_cmp_ne_u32_e64 s[4:5], 0, v7
	s_and_saveexec_b64 s[6:7], s[4:5]
	s_cbranch_execz .LBB1_385
; %bb.372:                              ;   in Loop: Header=BB1_6 Depth=2
	v_cmp_gt_i32_e64 s[4:5], 1, v5
	s_and_saveexec_b64 s[8:9], s[4:5]
	s_cbranch_execz .LBB1_384
; %bb.373:                              ;   in Loop: Header=BB1_6 Depth=2
	s_mov_b64 s[10:11], 0
	v_mov_b32_e32 v7, v5
	s_branch .LBB1_376
.LBB1_374:                              ;   in Loop: Header=BB1_376 Depth=3
	s_or_b64 exec, exec, s[38:39]
.LBB1_375:                              ;   in Loop: Header=BB1_376 Depth=3
	s_or_b64 exec, exec, s[36:37]
	v_add_u32_e32 v7, 1, v7
	v_cmp_eq_u32_e64 s[4:5], 1, v7
	s_or_b64 s[10:11], s[4:5], s[10:11]
	s_andn2_b64 exec, exec, s[10:11]
	s_cbranch_execz .LBB1_383
.LBB1_376:                              ;   Parent Loop BB1_3 Depth=1
                                        ;     Parent Loop BB1_6 Depth=2
                                        ; =>    This Inner Loop Header: Depth=3
	v_cmp_lt_i32_e64 s[4:5], 1, v7
	v_mov_b32_e32 v28, v6
	s_and_saveexec_b64 s[36:37], s[4:5]
	s_xor_b64 s[36:37], exec, s[36:37]
	s_cbranch_execz .LBB1_380
; %bb.377:                              ;   in Loop: Header=BB1_376 Depth=3
	v_cmp_eq_u32_e64 s[4:5], 2, v7
	v_mov_b32_e32 v28, 0
	s_and_saveexec_b64 s[38:39], s[4:5]
; %bb.378:                              ;   in Loop: Header=BB1_376 Depth=3
	v_and_b32_e32 v28, 0xf00ff00f, v6
	v_lshlrev_b32_e32 v29, 4, v6
	v_lshrrev_b32_e32 v6, 4, v6
	v_and_b32_e32 v29, 0xf000f00, v29
	v_and_b32_e32 v6, 0xf000f0, v6
	v_or3_b32 v28, v29, v28, v6
; %bb.379:                              ;   in Loop: Header=BB1_376 Depth=3
	s_or_b64 exec, exec, s[38:39]
	v_mov_b32_e32 v6, v28
                                        ; implicit-def: $vgpr28
.LBB1_380:                              ;   in Loop: Header=BB1_376 Depth=3
	s_andn2_saveexec_b64 s[36:37], s[36:37]
	s_cbranch_execz .LBB1_375
; %bb.381:                              ;   in Loop: Header=BB1_376 Depth=3
	v_cmp_eq_u32_e64 s[4:5], 0, v7
	v_mov_b32_e32 v6, 0
	s_and_saveexec_b64 s[38:39], s[4:5]
	s_cbranch_execz .LBB1_374
; %bb.382:                              ;   in Loop: Header=BB1_376 Depth=3
	v_and_b32_e32 v6, 0x99999999, v28
	v_lshlrev_b32_e32 v29, 1, v28
	v_lshrrev_b32_e32 v28, 1, v28
	v_and_b32_e32 v29, 0x44444444, v29
	v_and_b32_e32 v28, 0x22222222, v28
	v_or3_b32 v6, v29, v6, v28
	s_branch .LBB1_374
.LBB1_383:                              ;   in Loop: Header=BB1_6 Depth=2
	s_or_b64 exec, exec, s[10:11]
.LBB1_384:                              ;   in Loop: Header=BB1_6 Depth=2
	s_or_b64 exec, exec, s[8:9]
	v_add_u32_e32 v5, -1, v5
.LBB1_385:                              ;   in Loop: Header=BB1_6 Depth=2
	s_or_b64 exec, exec, s[6:7]
	buffer_store_dword v2, off, s[0:3], 0 offset:8
	buffer_store_dword v1, off, s[0:3], 0 offset:4
	;; [unrolled: 1-line block ×5, first 2 shown]
	buffer_store_byte v52, off, s[0:3], 0 offset:24
	buffer_store_dword v9, off, s[0:3], 0 offset:36
	buffer_store_dword v8, off, s[0:3], 0 offset:32
	buffer_store_dword v11, off, s[0:3], 0 offset:44
	buffer_store_dword v10, off, s[0:3], 0 offset:40
	buffer_store_dword v54, off, s[0:3], 0 offset:48
	buffer_store_byte v56, off, s[0:3], 0 offset:52
	v_mov_b32_e32 v1, 0
	s_and_saveexec_b64 s[8:9], vcc
	s_cbranch_execz .LBB1_393
; %bb.386:                              ;   in Loop: Header=BB1_6 Depth=2
	s_mov_b32 s40, 0
	v_cmp_ne_u32_e64 s[4:5], 0, v26
	s_mov_b64 s[10:11], 0
	v_mov_b32_e32 v1, 0
	s_branch .LBB1_388
.LBB1_387:                              ;   in Loop: Header=BB1_388 Depth=3
	s_or_b64 exec, exec, s[36:37]
	s_add_i32 s40, s40, 1
	v_cmp_eq_u32_e64 s[6:7], s40, v4
	s_or_b64 s[10:11], s[6:7], s[10:11]
	s_andn2_b64 exec, exec, s[10:11]
	s_cbranch_execz .LBB1_392
.LBB1_388:                              ;   Parent Loop BB1_3 Depth=1
                                        ;     Parent Loop BB1_6 Depth=2
                                        ; =>    This Loop Header: Depth=3
                                        ;         Child Loop BB1_390 Depth 4
	s_and_saveexec_b64 s[36:37], s[4:5]
	s_cbranch_execz .LBB1_387
; %bb.389:                              ;   in Loop: Header=BB1_388 Depth=3
	s_lshl_b32 s6, s40, 2
	v_add_u32_e32 v2, s6, v38
	buffer_load_dword v2, v2, s[0:3], 0 offen
	s_lshl_b32 s41, 1, s40
	s_mov_b64 s[38:39], 0
	v_mov_b32_e32 v3, v26
	v_mov_b32_e32 v7, v39
.LBB1_390:                              ;   Parent Loop BB1_3 Depth=1
                                        ;     Parent Loop BB1_6 Depth=2
                                        ;       Parent Loop BB1_388 Depth=3
                                        ; =>      This Inner Loop Header: Depth=4
	buffer_load_dword v8, v7, s[0:3], 0 offen
	v_add_u32_e32 v3, -1, v3
	v_cmp_eq_u32_e64 s[6:7], 0, v3
	v_mov_b32_e32 v9, s41
	s_or_b64 s[38:39], s[6:7], s[38:39]
	v_add_u32_e32 v7, 4, v7
	s_waitcnt vmcnt(0)
	v_cmp_eq_u32_e64 s[6:7], v8, v2
	v_cndmask_b32_e64 v8, 0, v9, s[6:7]
	v_or_b32_e32 v1, v8, v1
	s_andn2_b64 exec, exec, s[38:39]
	s_cbranch_execnz .LBB1_390
; %bb.391:                              ;   in Loop: Header=BB1_388 Depth=3
	s_or_b64 exec, exec, s[38:39]
	s_branch .LBB1_387
.LBB1_392:                              ;   in Loop: Header=BB1_6 Depth=2
	s_or_b64 exec, exec, s[10:11]
.LBB1_393:                              ;   in Loop: Header=BB1_6 Depth=2
	s_or_b64 exec, exec, s[8:9]
	s_waitcnt vmcnt(24)
	v_cmp_ne_u32_e64 s[4:5], 0, v55
	v_cndmask_b32_e64 v2, 0, -1, s[4:5]
	v_and_b32_e32 v7, 8, v1
	v_xor_b32_e32 v3, v27, v2
	v_add_u32_e32 v2, -1, v26
	v_cmp_ne_u32_e64 s[4:5], 0, v7
	s_and_saveexec_b64 s[6:7], s[4:5]
	s_cbranch_execz .LBB1_409
; %bb.394:                              ;   in Loop: Header=BB1_6 Depth=2
	v_cmp_gt_u32_e64 s[4:5], 4, v26
	s_and_saveexec_b64 s[8:9], s[4:5]
	s_cbranch_execz .LBB1_408
; %bb.395:                              ;   in Loop: Header=BB1_6 Depth=2
	s_mov_b64 s[10:11], 0
	s_branch .LBB1_398
.LBB1_396:                              ;   in Loop: Header=BB1_398 Depth=3
	s_or_b64 exec, exec, s[38:39]
.LBB1_397:                              ;   in Loop: Header=BB1_398 Depth=3
	s_or_b64 exec, exec, s[36:37]
	v_add_u32_e32 v7, 1, v2
	v_cmp_lt_i32_e64 s[4:5], 1, v2
	s_or_b64 s[10:11], s[4:5], s[10:11]
	v_mov_b32_e32 v2, v7
	s_andn2_b64 exec, exec, s[10:11]
	s_cbranch_execz .LBB1_407
.LBB1_398:                              ;   Parent Loop BB1_3 Depth=1
                                        ;     Parent Loop BB1_6 Depth=2
                                        ; =>    This Inner Loop Header: Depth=3
	v_cmp_lt_i32_e64 s[4:5], 0, v2
	v_mov_b32_e32 v7, v3
	s_and_saveexec_b64 s[36:37], s[4:5]
	s_xor_b64 s[36:37], exec, s[36:37]
	s_cbranch_execz .LBB1_404
; %bb.399:                              ;   in Loop: Header=BB1_398 Depth=3
	v_cmp_lt_i32_e64 s[4:5], 1, v2
	s_and_saveexec_b64 s[38:39], s[4:5]
	s_xor_b64 s[4:5], exec, s[38:39]
; %bb.400:                              ;   in Loop: Header=BB1_398 Depth=3
	v_and_b32_e32 v7, 0xf00ff00f, v3
	v_lshlrev_b32_e32 v8, 4, v3
	v_lshrrev_b32_e32 v3, 4, v3
	v_and_b32_e32 v8, 0xf000f00, v8
	v_and_b32_e32 v3, 0xf000f0, v3
	v_or3_b32 v3, v8, v7, v3
; %bb.401:                              ;   in Loop: Header=BB1_398 Depth=3
	s_andn2_saveexec_b64 s[4:5], s[4:5]
; %bb.402:                              ;   in Loop: Header=BB1_398 Depth=3
	v_and_b32_e32 v7, 0xc3c3c3c3, v3
	v_lshlrev_b32_e32 v8, 2, v3
	v_lshrrev_b32_e32 v3, 2, v3
	v_and_b32_e32 v8, 0x30303030, v8
	v_and_b32_e32 v3, 0xc0c0c0c, v3
	v_or3_b32 v3, v8, v7, v3
; %bb.403:                              ;   in Loop: Header=BB1_398 Depth=3
	s_or_b64 exec, exec, s[4:5]
                                        ; implicit-def: $vgpr7
.LBB1_404:                              ;   in Loop: Header=BB1_398 Depth=3
	s_andn2_saveexec_b64 s[36:37], s[36:37]
	s_cbranch_execz .LBB1_397
; %bb.405:                              ;   in Loop: Header=BB1_398 Depth=3
	v_cmp_eq_u32_e64 s[4:5], 0, v2
	v_mov_b32_e32 v3, 0
	s_and_saveexec_b64 s[38:39], s[4:5]
	s_cbranch_execz .LBB1_396
; %bb.406:                              ;   in Loop: Header=BB1_398 Depth=3
	v_and_b32_e32 v3, 0x99999999, v7
	v_lshlrev_b32_e32 v8, 1, v7
	v_lshrrev_b32_e32 v7, 1, v7
	v_and_b32_e32 v8, 0x44444444, v8
	v_and_b32_e32 v7, 0x22222222, v7
	v_or3_b32 v3, v8, v3, v7
	s_branch .LBB1_396
.LBB1_407:                              ;   in Loop: Header=BB1_6 Depth=2
	s_or_b64 exec, exec, s[10:11]
.LBB1_408:                              ;   in Loop: Header=BB1_6 Depth=2
	s_or_b64 exec, exec, s[8:9]
	v_add_u32_e32 v2, -2, v26
.LBB1_409:                              ;   in Loop: Header=BB1_6 Depth=2
	s_or_b64 exec, exec, s[6:7]
	v_and_b32_e32 v7, 4, v1
	v_cmp_ne_u32_e64 s[4:5], 0, v7
	s_and_saveexec_b64 s[6:7], s[4:5]
	s_cbranch_execz .LBB1_421
; %bb.410:                              ;   in Loop: Header=BB1_6 Depth=2
	v_cmp_gt_i32_e64 s[4:5], 2, v2
	s_and_saveexec_b64 s[8:9], s[4:5]
	s_cbranch_execz .LBB1_420
; %bb.411:                              ;   in Loop: Header=BB1_6 Depth=2
	s_mov_b64 s[10:11], 0
	v_mov_b32_e32 v7, v2
	s_branch .LBB1_414
.LBB1_412:                              ;   in Loop: Header=BB1_414 Depth=3
	s_or_b64 exec, exec, s[38:39]
.LBB1_413:                              ;   in Loop: Header=BB1_414 Depth=3
	s_or_b64 exec, exec, s[36:37]
	v_add_u32_e32 v8, 1, v7
	v_cmp_lt_i32_e64 s[4:5], 0, v7
	s_or_b64 s[10:11], s[4:5], s[10:11]
	v_mov_b32_e32 v7, v8
	s_andn2_b64 exec, exec, s[10:11]
	s_cbranch_execz .LBB1_419
.LBB1_414:                              ;   Parent Loop BB1_3 Depth=1
                                        ;     Parent Loop BB1_6 Depth=2
                                        ; =>    This Inner Loop Header: Depth=3
	v_cmp_lt_i32_e64 s[4:5], 0, v7
	v_mov_b32_e32 v8, v3
	s_and_saveexec_b64 s[36:37], s[4:5]
	s_xor_b64 s[4:5], exec, s[36:37]
; %bb.415:                              ;   in Loop: Header=BB1_414 Depth=3
	v_and_b32_e32 v8, 0xc3c3c3c3, v3
	v_lshlrev_b32_e32 v9, 2, v3
	v_lshrrev_b32_e32 v3, 2, v3
	v_and_b32_e32 v9, 0x30303030, v9
	v_and_b32_e32 v3, 0xc0c0c0c, v3
	v_or3_b32 v3, v9, v8, v3
                                        ; implicit-def: $vgpr8
; %bb.416:                              ;   in Loop: Header=BB1_414 Depth=3
	s_andn2_saveexec_b64 s[36:37], s[4:5]
	s_cbranch_execz .LBB1_413
; %bb.417:                              ;   in Loop: Header=BB1_414 Depth=3
	v_cmp_eq_u32_e64 s[4:5], 0, v7
	v_mov_b32_e32 v3, 0
	s_and_saveexec_b64 s[38:39], s[4:5]
	s_cbranch_execz .LBB1_412
; %bb.418:                              ;   in Loop: Header=BB1_414 Depth=3
	v_and_b32_e32 v3, 0x99999999, v8
	v_lshlrev_b32_e32 v9, 1, v8
	v_lshrrev_b32_e32 v8, 1, v8
	v_and_b32_e32 v9, 0x44444444, v9
	v_and_b32_e32 v8, 0x22222222, v8
	v_or3_b32 v3, v9, v3, v8
	s_branch .LBB1_412
.LBB1_419:                              ;   in Loop: Header=BB1_6 Depth=2
	s_or_b64 exec, exec, s[10:11]
.LBB1_420:                              ;   in Loop: Header=BB1_6 Depth=2
	s_or_b64 exec, exec, s[8:9]
	v_add_u32_e32 v2, -1, v2
.LBB1_421:                              ;   in Loop: Header=BB1_6 Depth=2
	s_or_b64 exec, exec, s[6:7]
	v_and_b32_e32 v7, 2, v1
	v_cmp_ne_u32_e64 s[4:5], 0, v7
	s_and_saveexec_b64 s[6:7], s[4:5]
	s_cbranch_execz .LBB1_435
; %bb.422:                              ;   in Loop: Header=BB1_6 Depth=2
	v_cmp_gt_i32_e64 s[4:5], 1, v2
	s_and_saveexec_b64 s[8:9], s[4:5]
	s_cbranch_execz .LBB1_434
; %bb.423:                              ;   in Loop: Header=BB1_6 Depth=2
	s_mov_b64 s[10:11], 0
	v_mov_b32_e32 v7, v2
	s_branch .LBB1_426
.LBB1_424:                              ;   in Loop: Header=BB1_426 Depth=3
	s_or_b64 exec, exec, s[38:39]
.LBB1_425:                              ;   in Loop: Header=BB1_426 Depth=3
	s_or_b64 exec, exec, s[36:37]
	v_add_u32_e32 v7, 1, v7
	v_cmp_eq_u32_e64 s[4:5], 1, v7
	s_or_b64 s[10:11], s[4:5], s[10:11]
	s_andn2_b64 exec, exec, s[10:11]
	s_cbranch_execz .LBB1_433
.LBB1_426:                              ;   Parent Loop BB1_3 Depth=1
                                        ;     Parent Loop BB1_6 Depth=2
                                        ; =>    This Inner Loop Header: Depth=3
	v_cmp_lt_i32_e64 s[4:5], 1, v7
	v_mov_b32_e32 v8, v3
	s_and_saveexec_b64 s[36:37], s[4:5]
	s_xor_b64 s[36:37], exec, s[36:37]
	s_cbranch_execz .LBB1_430
; %bb.427:                              ;   in Loop: Header=BB1_426 Depth=3
	v_cmp_eq_u32_e64 s[4:5], 2, v7
	v_mov_b32_e32 v8, 0
	s_and_saveexec_b64 s[38:39], s[4:5]
; %bb.428:                              ;   in Loop: Header=BB1_426 Depth=3
	v_and_b32_e32 v8, 0xf00ff00f, v3
	v_lshlrev_b32_e32 v9, 4, v3
	v_lshrrev_b32_e32 v3, 4, v3
	v_and_b32_e32 v9, 0xf000f00, v9
	v_and_b32_e32 v3, 0xf000f0, v3
	v_or3_b32 v8, v9, v8, v3
; %bb.429:                              ;   in Loop: Header=BB1_426 Depth=3
	s_or_b64 exec, exec, s[38:39]
	v_mov_b32_e32 v3, v8
                                        ; implicit-def: $vgpr8
.LBB1_430:                              ;   in Loop: Header=BB1_426 Depth=3
	s_andn2_saveexec_b64 s[36:37], s[36:37]
	s_cbranch_execz .LBB1_425
; %bb.431:                              ;   in Loop: Header=BB1_426 Depth=3
	v_cmp_eq_u32_e64 s[4:5], 0, v7
	v_mov_b32_e32 v3, 0
	s_and_saveexec_b64 s[38:39], s[4:5]
	s_cbranch_execz .LBB1_424
; %bb.432:                              ;   in Loop: Header=BB1_426 Depth=3
	v_and_b32_e32 v3, 0x99999999, v8
	v_lshlrev_b32_e32 v9, 1, v8
	v_lshrrev_b32_e32 v8, 1, v8
	v_and_b32_e32 v9, 0x44444444, v9
	v_and_b32_e32 v8, 0x22222222, v8
	v_or3_b32 v3, v9, v3, v8
	s_branch .LBB1_424
.LBB1_433:                              ;   in Loop: Header=BB1_6 Depth=2
	s_or_b64 exec, exec, s[10:11]
.LBB1_434:                              ;   in Loop: Header=BB1_6 Depth=2
	s_or_b64 exec, exec, s[8:9]
	v_add_u32_e32 v2, -1, v2
.LBB1_435:                              ;   in Loop: Header=BB1_6 Depth=2
	s_or_b64 exec, exec, s[6:7]
	v_and_b32_e32 v0, 1, v0
	v_cmp_eq_u32_e64 s[4:5], 1, v0
	v_cmp_gt_i32_e64 s[6:7], 0, v5
	s_and_b64 s[4:5], s[4:5], s[6:7]
	v_and_b32_e32 v1, 1, v1
	v_cndmask_b32_e64 v0, v6, 0, s[4:5]
	v_cmp_eq_u32_e64 s[4:5], 1, v1
	v_cmp_gt_i32_e64 s[6:7], 0, v2
	s_and_b64 s[4:5], s[4:5], s[6:7]
	v_cndmask_b32_e64 v1, v3, 0, s[4:5]
	v_and_b32_e32 v6, v1, v0
	s_mov_b32 s10, 0
	v_mov_b32_e32 v7, 0
	v_and_b32_e32 v2, 0xffff, v6
	v_bfi_b32 v5, s33, v6, v54
	v_mov_b32_e32 v8, 0
	global_store_dword v[24:25], v5, off offset:20
	s_and_saveexec_b64 s[4:5], vcc
	s_cbranch_execz .LBB1_439
; %bb.436:                              ;   in Loop: Header=BB1_6 Depth=2
	v_mov_b32_e32 v1, v2
	s_mov_b64 s[6:7], 0
	v_mov_b32_e32 v8, 0
	v_mov_b32_e32 v7, v4
	s_getpc_b64 s[8:9]
	s_add_u32 s8, s8, __const._Z18MinimizeCutSupportPN2rw3CutE.masks@rel32@lo+4
	s_addc_u32 s9, s9, __const._Z18MinimizeCutSupportPN2rw3CutE.masks@rel32@hi+12
.LBB1_437:                              ;   Parent Loop BB1_3 Depth=1
                                        ;     Parent Loop BB1_6 Depth=2
                                        ; =>    This Inner Loop Header: Depth=3
	s_load_dwordx2 s[36:37], s[8:9], 0x0
	s_lshl_b32 s11, 1, s10
	s_add_i32 s10, s10, 1
	s_add_u32 s8, s8, 8
	v_cmp_eq_u32_e32 vcc, s10, v4
	s_waitcnt lgkmcnt(0)
	v_and_b32_e32 v9, s37, v1
	s_addc_u32 s9, s9, 0
	v_and_b32_e32 v3, s36, v2
	v_lshrrev_b32_e32 v9, s11, v9
	v_mov_b32_e32 v0, s11
	s_or_b64 s[6:7], vcc, s[6:7]
	v_cmp_eq_u32_e32 vcc, v3, v9
	v_cndmask_b32_e64 v0, v0, 0, vcc
	v_or_b32_e32 v8, v0, v8
	v_subbrev_co_u32_e32 v7, vcc, 0, v7, vcc
	s_andn2_b64 exec, exec, s[6:7]
	s_cbranch_execnz .LBB1_437
; %bb.438:                              ;   in Loop: Header=BB1_6 Depth=2
	s_or_b64 exec, exec, s[6:7]
.LBB1_439:                              ;   in Loop: Header=BB1_6 Depth=2
	s_or_b64 exec, exec, s[4:5]
	v_add_co_u32_e32 v0, vcc, 4, v24
	v_addc_co_u32_e32 v1, vcc, 0, v25, vcc
	v_and_b32_e32 v3, 0xffff0000, v54
	v_cmp_ne_u32_e32 vcc, v7, v4
	s_and_saveexec_b64 s[36:37], vcc
	s_cbranch_execz .LBB1_520
; %bb.440:                              ;   in Loop: Header=BB1_6 Depth=2
	v_and_b32_e32 v5, 2, v8
	v_and_b32_e32 v4, 1, v8
	v_cmp_ne_u32_e32 vcc, 0, v5
	s_and_saveexec_b64 s[4:5], vcc
; %bb.441:                              ;   in Loop: Header=BB1_6 Depth=2
	v_lshlrev_b32_e32 v5, 1, v2
	v_and_b32_e32 v9, 0x9999, v6
	v_lshrrev_b32_e32 v6, 1, v6
	v_and_b32_e32 v5, 0x4444, v5
	v_and_b32_e32 v6, 0x2222, v6
	v_or3_b32 v5, v6, v9, v5
	v_cmp_eq_u32_e32 vcc, 0, v4
	v_cndmask_b32_e32 v2, v2, v5, vcc
	v_add_u32_e32 v4, 1, v4
; %bb.442:                              ;   in Loop: Header=BB1_6 Depth=2
	s_or_b64 exec, exec, s[4:5]
	v_and_b32_e32 v5, 4, v8
	v_cmp_ne_u32_e32 vcc, 0, v5
	s_and_saveexec_b64 s[4:5], vcc
	s_cbranch_execz .LBB1_459
; %bb.443:                              ;   in Loop: Header=BB1_6 Depth=2
	v_cmp_gt_u32_e32 vcc, 2, v4
	s_and_saveexec_b64 s[6:7], vcc
	s_cbranch_execz .LBB1_458
; %bb.444:                              ;   in Loop: Header=BB1_6 Depth=2
	s_mov_b32 s38, 2
	s_mov_b64 s[8:9], 0
	s_branch .LBB1_446
.LBB1_445:                              ;   in Loop: Header=BB1_446 Depth=3
	s_add_i32 s38, s38, -1
	v_cmp_le_u32_e32 vcc, s38, v4
	s_or_b64 s[8:9], vcc, s[8:9]
	s_andn2_b64 exec, exec, s[8:9]
	s_cbranch_execz .LBB1_457
.LBB1_446:                              ;   Parent Loop BB1_3 Depth=1
                                        ;     Parent Loop BB1_6 Depth=2
                                        ; =>    This Inner Loop Header: Depth=3
	v_mov_b32_e32 v5, v2
	s_cmp_lt_i32 s38, 2
	s_cbranch_scc1 .LBB1_450
; %bb.447:                              ;   in Loop: Header=BB1_446 Depth=3
	s_cmp_lt_i32 s38, 3
	s_cbranch_scc1 .LBB1_451
; %bb.448:                              ;   in Loop: Header=BB1_446 Depth=3
	s_cmp_eq_u32 s38, 3
	v_mov_b32_e32 v2, 0
	s_cbranch_scc0 .LBB1_456
; %bb.449:                              ;   in Loop: Header=BB1_446 Depth=3
	v_lshlrev_b32_e32 v6, 4, v5
	v_lshrrev_b32_e32 v9, 4, v5
	v_and_b32_e32 v2, 0xf00ff00f, v5
	v_and_b32_e32 v6, 0xf000f00, v6
	;; [unrolled: 1-line block ×3, first 2 shown]
	v_or3_b32 v2, v6, v2, v9
	s_cbranch_execz .LBB1_452
	s_branch .LBB1_453
.LBB1_450:                              ;   in Loop: Header=BB1_446 Depth=3
                                        ; implicit-def: $vgpr2
	s_branch .LBB1_454
.LBB1_451:                              ;   in Loop: Header=BB1_446 Depth=3
                                        ; implicit-def: $vgpr2
.LBB1_452:                              ;   in Loop: Header=BB1_446 Depth=3
	v_lshlrev_b32_e32 v6, 2, v5
	v_lshrrev_b32_e32 v9, 2, v5
	v_and_b32_e32 v2, 0xc3c3c3c3, v5
	v_and_b32_e32 v6, 0x30303030, v6
	;; [unrolled: 1-line block ×3, first 2 shown]
	v_or3_b32 v2, v6, v2, v9
.LBB1_453:                              ;   in Loop: Header=BB1_446 Depth=3
	s_cbranch_execnz .LBB1_445
.LBB1_454:                              ;   in Loop: Header=BB1_446 Depth=3
	s_cmp_eq_u32 s38, 1
	v_mov_b32_e32 v2, 0
	s_cbranch_scc0 .LBB1_445
; %bb.455:                              ;   in Loop: Header=BB1_446 Depth=3
	v_and_b32_e32 v2, 0x99999999, v5
	v_lshlrev_b32_e32 v6, 1, v5
	v_lshrrev_b32_e32 v5, 1, v5
	v_and_b32_e32 v6, 0x44444444, v6
	v_and_b32_e32 v5, 0x22222222, v5
	v_or3_b32 v2, v6, v2, v5
	s_branch .LBB1_445
.LBB1_456:                              ;   in Loop: Header=BB1_446 Depth=3
	s_cbranch_execz .LBB1_452
	s_branch .LBB1_453
.LBB1_457:                              ;   in Loop: Header=BB1_6 Depth=2
	s_or_b64 exec, exec, s[8:9]
.LBB1_458:                              ;   in Loop: Header=BB1_6 Depth=2
	s_or_b64 exec, exec, s[6:7]
	v_add_u32_e32 v4, 1, v4
.LBB1_459:                              ;   in Loop: Header=BB1_6 Depth=2
	s_or_b64 exec, exec, s[4:5]
	v_and_b32_e32 v5, 8, v8
	v_cmp_ne_u32_e32 vcc, 0, v5
	v_cmp_gt_i32_e64 s[4:5], 3, v4
	s_and_b64 s[6:7], vcc, s[4:5]
	s_and_saveexec_b64 s[4:5], s[6:7]
	s_cbranch_execz .LBB1_474
; %bb.460:                              ;   in Loop: Header=BB1_6 Depth=2
	s_mov_b32 s10, 3
	s_mov_b64 s[6:7], 0
	s_branch .LBB1_462
.LBB1_461:                              ;   in Loop: Header=BB1_462 Depth=3
	s_add_i32 s10, s10, -1
	v_cmp_le_u32_e32 vcc, s10, v4
	s_or_b64 s[6:7], vcc, s[6:7]
	s_andn2_b64 exec, exec, s[6:7]
	s_cbranch_execz .LBB1_473
.LBB1_462:                              ;   Parent Loop BB1_3 Depth=1
                                        ;     Parent Loop BB1_6 Depth=2
                                        ; =>    This Inner Loop Header: Depth=3
	v_mov_b32_e32 v5, v2
	s_cmp_lt_i32 s10, 2
	s_cbranch_scc1 .LBB1_466
; %bb.463:                              ;   in Loop: Header=BB1_462 Depth=3
	s_cmp_lt_i32 s10, 3
	s_cbranch_scc1 .LBB1_467
; %bb.464:                              ;   in Loop: Header=BB1_462 Depth=3
	s_cmp_eq_u32 s10, 3
	v_mov_b32_e32 v2, 0
	s_cbranch_scc0 .LBB1_472
; %bb.465:                              ;   in Loop: Header=BB1_462 Depth=3
	v_lshlrev_b32_e32 v6, 4, v5
	v_lshrrev_b32_e32 v9, 4, v5
	v_and_b32_e32 v2, 0xf00ff00f, v5
	v_and_b32_e32 v6, 0xf000f00, v6
	;; [unrolled: 1-line block ×3, first 2 shown]
	v_or3_b32 v2, v6, v2, v9
	s_cbranch_execz .LBB1_468
	s_branch .LBB1_469
.LBB1_466:                              ;   in Loop: Header=BB1_462 Depth=3
                                        ; implicit-def: $vgpr2
	s_branch .LBB1_470
.LBB1_467:                              ;   in Loop: Header=BB1_462 Depth=3
                                        ; implicit-def: $vgpr2
.LBB1_468:                              ;   in Loop: Header=BB1_462 Depth=3
	v_lshlrev_b32_e32 v6, 2, v5
	v_lshrrev_b32_e32 v9, 2, v5
	v_and_b32_e32 v2, 0xc3c3c3c3, v5
	v_and_b32_e32 v6, 0x30303030, v6
	v_and_b32_e32 v9, 0xc0c0c0c, v9
	v_or3_b32 v2, v6, v2, v9
.LBB1_469:                              ;   in Loop: Header=BB1_462 Depth=3
	s_cbranch_execnz .LBB1_461
.LBB1_470:                              ;   in Loop: Header=BB1_462 Depth=3
	s_cmp_eq_u32 s10, 1
	v_mov_b32_e32 v2, 0
	s_cbranch_scc0 .LBB1_461
; %bb.471:                              ;   in Loop: Header=BB1_462 Depth=3
	v_and_b32_e32 v2, 0x99999999, v5
	v_lshlrev_b32_e32 v6, 1, v5
	v_lshrrev_b32_e32 v5, 1, v5
	v_and_b32_e32 v6, 0x44444444, v6
	v_and_b32_e32 v5, 0x22222222, v5
	v_or3_b32 v2, v6, v2, v5
	s_branch .LBB1_461
.LBB1_472:                              ;   in Loop: Header=BB1_462 Depth=3
	s_cbranch_execz .LBB1_468
	s_branch .LBB1_469
.LBB1_473:                              ;   in Loop: Header=BB1_6 Depth=2
	s_or_b64 exec, exec, s[6:7]
.LBB1_474:                              ;   in Loop: Header=BB1_6 Depth=2
	s_or_b64 exec, exec, s[4:5]
	v_and_or_b32 v5, v2, s33, v3
	v_and_b32_e32 v2, 0x78000000, v54
	v_cmp_ne_u32_e32 vcc, 0, v2
	v_mov_b32_e32 v6, 0
	global_store_dword v[24:25], v5, off offset:20
	global_store_dword v[24:25], v32, off
	s_and_saveexec_b64 s[4:5], vcc
	s_cbranch_execz .LBB1_480
; %bb.475:                              ;   in Loop: Header=BB1_6 Depth=2
	s_mov_b32 s10, 0
	s_mov_b64 s[6:7], 0
	v_mov_b32_e32 v6, 0
	v_pk_mov_b32 v[2:3], v[0:1], v[0:1] op_sel:[0,1]
	v_mov_b32_e32 v4, 0
	s_branch .LBB1_477
.LBB1_476:                              ;   in Loop: Header=BB1_477 Depth=3
	s_or_b64 exec, exec, s[8:9]
	s_add_i32 s10, s10, 1
	s_waitcnt vmcnt(1)
	v_bfe_u32 v9, v5, 27, 4
	v_cmp_ge_u32_e32 vcc, s10, v9
	s_or_b64 s[6:7], vcc, s[6:7]
	v_add_co_u32_e32 v2, vcc, 4, v2
	v_addc_co_u32_e32 v3, vcc, 0, v3, vcc
	s_andn2_b64 exec, exec, s[6:7]
	s_cbranch_execz .LBB1_479
.LBB1_477:                              ;   Parent Loop BB1_3 Depth=1
                                        ;     Parent Loop BB1_6 Depth=2
                                        ; =>    This Inner Loop Header: Depth=3
	v_lshrrev_b32_e32 v9, s10, v8
	v_and_b32_e32 v9, 1, v9
	v_cmp_eq_u32_e32 vcc, 1, v9
	s_and_saveexec_b64 s[8:9], vcc
	s_cbranch_execz .LBB1_476
; %bb.478:                              ;   in Loop: Header=BB1_477 Depth=3
	global_load_dword v6, v[2:3], off
	v_ashrrev_i32_e32 v5, 31, v4
	v_lshlrev_b64 v[10:11], 2, v[4:5]
	v_add_co_u32_e32 v10, vcc, v0, v10
	v_addc_co_u32_e32 v11, vcc, v1, v11, vcc
	v_add_u32_e32 v4, 1, v4
	s_waitcnt vmcnt(0)
	global_store_dword v[10:11], v6, off
	global_load_dword v9, v[24:25], off
	global_load_dword v5, v[24:25], off offset:20
	s_waitcnt vmcnt(1)
	v_lshl_or_b32 v6, 1, v6, v9
	global_store_dword v[24:25], v6, off
	s_branch .LBB1_476
.LBB1_479:                              ;   in Loop: Header=BB1_6 Depth=2
	s_or_b64 exec, exec, s[6:7]
.LBB1_480:                              ;   in Loop: Header=BB1_6 Depth=2
	s_or_b64 exec, exec, s[4:5]
	v_lshlrev_b32_e32 v2, 27, v7
	v_and_b32_e32 v4, 15, v7
	v_bfi_b32 v5, s75, v5, v2
	s_mov_b32 s68, 0
	v_cmp_ne_u32_e32 vcc, 0, v4
	s_mov_b64 s[38:39], 0
	global_store_dword v[24:25], v5, off offset:20
                                        ; implicit-def: $sgpr40_sgpr41
                                        ; implicit-def: $sgpr42_sgpr43
	s_branch .LBB1_482
.LBB1_481:                              ;   in Loop: Header=BB1_482 Depth=3
	s_or_b64 exec, exec, s[8:9]
	s_and_b64 s[4:5], exec, s[6:7]
	s_or_b64 s[38:39], s[4:5], s[38:39]
	s_andn2_b64 s[4:5], s[40:41], exec
	s_and_b64 s[6:7], s[42:43], exec
	s_or_b64 s[40:41], s[4:5], s[6:7]
	s_andn2_b64 exec, exec, s[38:39]
	s_cbranch_execz .LBB1_517
.LBB1_482:                              ;   Parent Loop BB1_3 Depth=1
                                        ;     Parent Loop BB1_6 Depth=2
                                        ; =>    This Loop Header: Depth=3
                                        ;         Child Loop BB1_489 Depth 4
                                        ;           Child Loop BB1_491 Depth 5
                                        ;         Child Loop BB1_503 Depth 4
                                        ;           Child Loop BB1_505 Depth 5
	v_cmp_eq_u32_e64 s[4:5], s68, v51
	v_cmp_ne_u32_e64 s[6:7], s68, v51
                                        ; implicit-def: $sgpr48_sgpr49
	s_and_saveexec_b64 s[44:45], s[6:7]
	s_cbranch_execz .LBB1_515
; %bb.483:                              ;   in Loop: Header=BB1_482 Depth=3
	v_mad_u64_u32 v[2:3], s[6:7], s68, 28, v[12:13]
	global_load_ubyte v8, v[2:3], off offset:24
	s_mov_b64 s[8:9], -1
                                        ; implicit-def: $sgpr48_sgpr49
	s_waitcnt vmcnt(0)
	v_and_b32_e32 v7, 1, v8
	v_cmp_eq_u32_e64 s[6:7], 1, v7
	s_and_saveexec_b64 s[46:47], s[6:7]
	s_cbranch_execz .LBB1_514
; %bb.484:                              ;   in Loop: Header=BB1_482 Depth=3
	global_load_dword v9, v[2:3], off offset:20
	global_load_dword v11, v[2:3], off
	s_mov_b64 s[50:51], 0
                                        ; implicit-def: $sgpr48_sgpr49
	s_waitcnt vmcnt(1)
	v_bfe_u32 v7, v9, 27, 4
	s_waitcnt vmcnt(0)
	v_and_b32_e32 v10, v6, v11
	v_cmp_le_u32_e64 s[6:7], v7, v4
	s_and_saveexec_b64 s[8:9], s[6:7]
	s_xor_b64 s[52:53], exec, s[8:9]
	s_cbranch_execz .LBB1_498
; %bb.485:                              ;   in Loop: Header=BB1_482 Depth=3
	v_cmp_eq_u32_e64 s[6:7], v10, v11
	s_mov_b64 s[8:9], -1
                                        ; implicit-def: $sgpr48_sgpr49
	s_and_saveexec_b64 s[50:51], s[6:7]
	s_cbranch_execz .LBB1_497
; %bb.486:                              ;   in Loop: Header=BB1_482 Depth=3
	global_load_dwordx3 v[56:58], v[24:25], off offset:16
	global_load_dwordx4 v[26:29], v[24:25], off
	global_load_dwordx4 v[52:55], v[2:3], off offset:4
	v_cmp_ne_u32_e64 s[6:7], 0, v7
	v_mov_b32_e32 v2, 1
	buffer_store_dword v9, off, s[0:3], 0 offset:20
	buffer_store_byte v8, off, s[0:3], 0 offset:24
	s_waitcnt vmcnt(4)
	buffer_store_dword v56, off, s[0:3], 0 offset:44
	buffer_store_dword v57, off, s[0:3], 0 offset:48
	;; [unrolled: 1-line block ×3, first 2 shown]
	s_waitcnt vmcnt(6)
	buffer_store_dword v29, off, s[0:3], 0 offset:40
	buffer_store_dword v28, off, s[0:3], 0 offset:36
	;; [unrolled: 1-line block ×4, first 2 shown]
	s_waitcnt vmcnt(9)
	buffer_store_dword v53, off, s[0:3], 0 offset:8
	buffer_store_dword v52, off, s[0:3], 0 offset:4
	;; [unrolled: 1-line block ×4, first 2 shown]
	s_and_saveexec_b64 s[48:49], s[6:7]
	s_cbranch_execz .LBB1_496
; %bb.487:                              ;   in Loop: Header=BB1_482 Depth=3
	buffer_load_dword v2, off, s[0:3], 0 offset:48
	s_mov_b32 s64, 0
	s_mov_b64 s[60:61], 0
	s_mov_b64 s[54:55], 0
                                        ; implicit-def: $sgpr56_sgpr57
                                        ; implicit-def: $sgpr58_sgpr59
	s_waitcnt vmcnt(0)
	v_bfe_u32 v2, v2, 27, 4
	v_cmp_ne_u32_e64 s[6:7], 0, v2
	s_branch .LBB1_489
.LBB1_488:                              ;   in Loop: Header=BB1_489 Depth=4
	s_or_b64 exec, exec, s[62:63]
	s_and_b64 s[8:9], exec, s[10:11]
	s_or_b64 s[54:55], s[8:9], s[54:55]
	s_andn2_b64 s[8:9], s[56:57], exec
	s_and_b64 s[10:11], s[58:59], exec
	s_or_b64 s[56:57], s[8:9], s[10:11]
	s_andn2_b64 exec, exec, s[54:55]
	s_cbranch_execz .LBB1_495
.LBB1_489:                              ;   Parent Loop BB1_3 Depth=1
                                        ;     Parent Loop BB1_6 Depth=2
                                        ;       Parent Loop BB1_482 Depth=3
                                        ; =>      This Loop Header: Depth=4
                                        ;           Child Loop BB1_491 Depth 5
	v_mov_b32_e32 v3, 0
	s_and_saveexec_b64 s[10:11], s[6:7]
	s_cbranch_execz .LBB1_493
; %bb.490:                              ;   in Loop: Header=BB1_489 Depth=4
	s_lshl_b32 s8, s64, 2
	v_add_u32_e32 v3, s8, v40
	buffer_load_dword v8, v3, s[0:3], 0 offen
	s_mov_b64 s[62:63], 0
	v_mov_b32_e32 v3, 0
	v_mov_b32_e32 v9, v2
	;; [unrolled: 1-line block ×3, first 2 shown]
.LBB1_491:                              ;   Parent Loop BB1_3 Depth=1
                                        ;     Parent Loop BB1_6 Depth=2
                                        ;       Parent Loop BB1_482 Depth=3
                                        ;         Parent Loop BB1_489 Depth=4
                                        ; =>        This Inner Loop Header: Depth=5
	buffer_load_dword v11, v10, s[0:3], 0 offen
	v_add_u32_e32 v9, -1, v9
	v_cmp_eq_u32_e64 s[8:9], 0, v9
	s_or_b64 s[62:63], s[8:9], s[62:63]
	v_add_u32_e32 v10, 4, v10
	s_waitcnt vmcnt(0)
	v_cmp_ne_u32_e64 s[8:9], v11, v8
	v_cndmask_b32_e64 v3, 1, v3, s[8:9]
	s_andn2_b64 exec, exec, s[62:63]
	s_cbranch_execnz .LBB1_491
; %bb.492:                              ;   in Loop: Header=BB1_489 Depth=4
	s_or_b64 exec, exec, s[62:63]
.LBB1_493:                              ;   in Loop: Header=BB1_489 Depth=4
	s_or_b64 exec, exec, s[10:11]
	s_andn2_b64 s[58:59], s[58:59], exec
	s_and_b64 s[60:61], s[60:61], exec
	v_cmp_ne_u32_e64 s[8:9], 0, v3
	s_mov_b64 s[10:11], -1
	s_or_b64 s[58:59], s[58:59], s[60:61]
                                        ; implicit-def: $sgpr60_sgpr61
	s_and_saveexec_b64 s[62:63], s[8:9]
	s_cbranch_execz .LBB1_488
; %bb.494:                              ;   in Loop: Header=BB1_489 Depth=4
	s_add_i32 s64, s64, 1
	v_cmp_ge_u32_e64 s[8:9], s64, v7
	v_cmp_eq_u32_e64 s[10:11], s64, v7
	s_and_b64 s[60:61], s[8:9], exec
	s_andn2_b64 s[8:9], s[58:59], exec
	s_or_b64 s[58:59], s[8:9], s[60:61]
	s_orn2_b64 s[10:11], s[10:11], exec
	s_branch .LBB1_488
.LBB1_495:                              ;   in Loop: Header=BB1_482 Depth=3
	s_or_b64 exec, exec, s[54:55]
	v_cndmask_b32_e64 v2, 0, 1, s[56:57]
.LBB1_496:                              ;   in Loop: Header=BB1_482 Depth=3
	s_or_b64 exec, exec, s[48:49]
	v_cmp_eq_u32_e64 s[6:7], 0, v2
	s_mov_b64 s[48:49], -1
	s_orn2_b64 s[8:9], s[6:7], exec
.LBB1_497:                              ;   in Loop: Header=BB1_482 Depth=3
	s_or_b64 exec, exec, s[50:51]
	s_and_b64 s[50:51], s[8:9], exec
                                        ; implicit-def: $vgpr10
                                        ; implicit-def: $vgpr2_vgpr3
.LBB1_498:                              ;   in Loop: Header=BB1_482 Depth=3
	s_andn2_saveexec_b64 s[52:53], s[52:53]
	s_cbranch_execz .LBB1_513
; %bb.499:                              ;   in Loop: Header=BB1_482 Depth=3
	v_cmp_eq_u32_e64 s[6:7], v10, v6
	s_and_saveexec_b64 s[54:55], s[6:7]
	s_cbranch_execz .LBB1_512
; %bb.500:                              ;   in Loop: Header=BB1_482 Depth=3
	global_load_dwordx3 v[52:54], v[2:3], off offset:16
	global_load_dwordx4 v[8:11], v[2:3], off
	global_load_dwordx4 v[26:29], v[24:25], off offset:4
	global_load_ubyte v7, v[24:25], off offset:24
	s_nop 0
	buffer_store_dword v5, off, s[0:3], 0 offset:20
	s_waitcnt vmcnt(4)
	buffer_store_dword v52, off, s[0:3], 0 offset:44
	buffer_store_dword v53, off, s[0:3], 0 offset:48
	;; [unrolled: 1-line block ×3, first 2 shown]
	s_waitcnt vmcnt(6)
	buffer_store_dword v11, off, s[0:3], 0 offset:40
	buffer_store_dword v10, off, s[0:3], 0 offset:36
	;; [unrolled: 1-line block ×4, first 2 shown]
	s_waitcnt vmcnt(9)
	buffer_store_dword v27, off, s[0:3], 0 offset:8
	buffer_store_dword v26, off, s[0:3], 0 offset:4
	;; [unrolled: 1-line block ×4, first 2 shown]
	s_waitcnt vmcnt(12)
	buffer_store_byte v7, off, s[0:3], 0 offset:24
	v_mov_b32_e32 v7, 1
	s_and_saveexec_b64 s[56:57], vcc
	s_cbranch_execz .LBB1_510
; %bb.501:                              ;   in Loop: Header=BB1_482 Depth=3
	buffer_load_dword v7, off, s[0:3], 0 offset:48
	s_mov_b32 s69, 0
	s_mov_b64 s[64:65], 0
	s_mov_b64 s[58:59], 0
                                        ; implicit-def: $sgpr60_sgpr61
                                        ; implicit-def: $sgpr62_sgpr63
	s_waitcnt vmcnt(0)
	v_bfe_u32 v7, v7, 27, 4
	v_cmp_ne_u32_e64 s[6:7], 0, v7
	s_branch .LBB1_503
.LBB1_502:                              ;   in Loop: Header=BB1_503 Depth=4
	s_or_b64 exec, exec, s[66:67]
	s_and_b64 s[8:9], exec, s[10:11]
	s_or_b64 s[58:59], s[8:9], s[58:59]
	s_andn2_b64 s[8:9], s[60:61], exec
	s_and_b64 s[10:11], s[62:63], exec
	s_or_b64 s[60:61], s[8:9], s[10:11]
	s_andn2_b64 exec, exec, s[58:59]
	s_cbranch_execz .LBB1_509
.LBB1_503:                              ;   Parent Loop BB1_3 Depth=1
                                        ;     Parent Loop BB1_6 Depth=2
                                        ;       Parent Loop BB1_482 Depth=3
                                        ; =>      This Loop Header: Depth=4
                                        ;           Child Loop BB1_505 Depth 5
	v_mov_b32_e32 v8, 0
	s_and_saveexec_b64 s[10:11], s[6:7]
	s_cbranch_execz .LBB1_507
; %bb.504:                              ;   in Loop: Header=BB1_503 Depth=4
	s_lshl_b32 s8, s69, 2
	v_add_u32_e32 v8, s8, v40
	buffer_load_dword v9, v8, s[0:3], 0 offen
	s_mov_b64 s[66:67], 0
	v_mov_b32_e32 v8, 0
	v_mov_b32_e32 v10, v7
	;; [unrolled: 1-line block ×3, first 2 shown]
.LBB1_505:                              ;   Parent Loop BB1_3 Depth=1
                                        ;     Parent Loop BB1_6 Depth=2
                                        ;       Parent Loop BB1_482 Depth=3
                                        ;         Parent Loop BB1_503 Depth=4
                                        ; =>        This Inner Loop Header: Depth=5
	buffer_load_dword v26, v11, s[0:3], 0 offen
	v_add_u32_e32 v10, -1, v10
	v_cmp_eq_u32_e64 s[8:9], 0, v10
	s_or_b64 s[66:67], s[8:9], s[66:67]
	v_add_u32_e32 v11, 4, v11
	s_waitcnt vmcnt(0)
	v_cmp_ne_u32_e64 s[8:9], v26, v9
	v_cndmask_b32_e64 v8, 1, v8, s[8:9]
	s_andn2_b64 exec, exec, s[66:67]
	s_cbranch_execnz .LBB1_505
; %bb.506:                              ;   in Loop: Header=BB1_503 Depth=4
	s_or_b64 exec, exec, s[66:67]
.LBB1_507:                              ;   in Loop: Header=BB1_503 Depth=4
	s_or_b64 exec, exec, s[10:11]
	s_andn2_b64 s[62:63], s[62:63], exec
	s_and_b64 s[64:65], s[64:65], exec
	v_cmp_ne_u32_e64 s[8:9], 0, v8
	s_mov_b64 s[10:11], -1
	s_or_b64 s[62:63], s[62:63], s[64:65]
                                        ; implicit-def: $sgpr64_sgpr65
	s_and_saveexec_b64 s[66:67], s[8:9]
	s_cbranch_execz .LBB1_502
; %bb.508:                              ;   in Loop: Header=BB1_503 Depth=4
	s_add_i32 s69, s69, 1
	v_cmp_ge_u32_e64 s[8:9], s69, v4
	v_cmp_eq_u32_e64 s[10:11], s69, v4
	s_and_b64 s[64:65], s[8:9], exec
	s_andn2_b64 s[8:9], s[62:63], exec
	s_or_b64 s[62:63], s[8:9], s[64:65]
	s_orn2_b64 s[10:11], s[10:11], exec
	s_branch .LBB1_502
.LBB1_509:                              ;   in Loop: Header=BB1_482 Depth=3
	s_or_b64 exec, exec, s[58:59]
	v_cndmask_b32_e64 v7, 0, 1, s[60:61]
.LBB1_510:                              ;   in Loop: Header=BB1_482 Depth=3
	s_or_b64 exec, exec, s[56:57]
	v_cmp_ne_u32_e64 s[6:7], 0, v7
	s_and_b64 exec, exec, s[6:7]
	s_cbranch_execz .LBB1_512
; %bb.511:                              ;   in Loop: Header=BB1_482 Depth=3
	global_store_byte v[2:3], v32, off offset:24
.LBB1_512:                              ;   in Loop: Header=BB1_482 Depth=3
	s_or_b64 exec, exec, s[54:55]
	s_or_b64 s[50:51], s[50:51], exec
.LBB1_513:                              ;   in Loop: Header=BB1_482 Depth=3
	s_or_b64 exec, exec, s[52:53]
	s_orn2_b64 s[8:9], s[50:51], exec
.LBB1_514:                              ;   in Loop: Header=BB1_482 Depth=3
	s_or_b64 exec, exec, s[46:47]
	s_andn2_b64 s[4:5], s[4:5], exec
	s_and_b64 s[6:7], s[8:9], exec
	s_or_b64 s[4:5], s[4:5], s[6:7]
.LBB1_515:                              ;   in Loop: Header=BB1_482 Depth=3
	s_or_b64 exec, exec, s[44:45]
	s_andn2_b64 s[8:9], s[42:43], exec
	s_and_b64 s[10:11], s[48:49], exec
	s_mov_b64 s[6:7], -1
	s_or_b64 s[42:43], s[8:9], s[10:11]
	s_and_saveexec_b64 s[8:9], s[4:5]
	s_cbranch_execz .LBB1_481
; %bb.516:                              ;   in Loop: Header=BB1_482 Depth=3
	s_add_i32 s68, s68, 1
	s_cmp_eq_u32 s68, 8
	s_cselect_b64 s[4:5], -1, 0
	s_andn2_b64 s[42:43], s[42:43], exec
	s_orn2_b64 s[6:7], s[4:5], exec
	s_branch .LBB1_481
.LBB1_517:                              ;   in Loop: Header=BB1_6 Depth=2
	s_or_b64 exec, exec, s[38:39]
	s_and_saveexec_b64 s[4:5], s[40:41]
	s_xor_b64 s[4:5], exec, s[4:5]
	s_cbranch_execz .LBB1_519
; %bb.518:                              ;   in Loop: Header=BB1_6 Depth=2
	global_store_byte v[24:25], v32, off offset:24
.LBB1_519:                              ;   in Loop: Header=BB1_6 Depth=2
	s_or_b64 exec, exec, s[4:5]
.LBB1_520:                              ;   in Loop: Header=BB1_6 Depth=2
	s_or_b64 exec, exec, s[36:37]
	v_bfe_u32 v2, v5, 27, 4
	v_cmp_ne_u32_e32 vcc, 0, v2
	v_mov_b32_e32 v3, 0
	v_mov_b32_e32 v4, 0
	s_and_saveexec_b64 s[4:5], vcc
	s_cbranch_execz .LBB1_524
; %bb.521:                              ;   in Loop: Header=BB1_6 Depth=2
	s_mov_b64 s[6:7], 0
	v_mov_b32_e32 v3, 0
	v_mov_b32_e32 v6, v2
	;; [unrolled: 1-line block ×3, first 2 shown]
.LBB1_522:                              ;   Parent Loop BB1_3 Depth=1
                                        ;     Parent Loop BB1_6 Depth=2
                                        ; =>    This Inner Loop Header: Depth=3
	global_load_dword v8, v[0:1], off
	v_mov_b32_e32 v7, s17
	v_add_u32_e32 v6, -1, v6
	s_waitcnt vmcnt(0)
	v_ashrrev_i32_e32 v9, 31, v8
	v_lshlrev_b64 v[8:9], 2, v[8:9]
	v_add_co_u32_e32 v8, vcc, s16, v8
	v_addc_co_u32_e32 v9, vcc, v7, v9, vcc
	global_load_dword v7, v[8:9], off
	v_add_co_u32_e32 v0, vcc, 4, v0
	v_addc_co_u32_e32 v1, vcc, 0, v1, vcc
	v_cmp_eq_u32_e32 vcc, 0, v6
	s_or_b64 s[6:7], vcc, s[6:7]
	s_waitcnt vmcnt(0)
	v_cmp_eq_u32_e32 vcc, 1, v7
	v_add_u32_e32 v4, v7, v4
	v_addc_co_u32_e32 v3, vcc, 0, v3, vcc
	s_andn2_b64 exec, exec, s[6:7]
	s_cbranch_execnz .LBB1_522
; %bb.523:                              ;   in Loop: Header=BB1_6 Depth=2
	s_or_b64 exec, exec, s[6:7]
.LBB1_524:                              ;   in Loop: Header=BB1_6 Depth=2
	s_or_b64 exec, exec, s[4:5]
	v_min_i32_e32 v0, 0x3e8, v4
	v_sub_u32_e32 v1, 5, v3
	v_cmp_lt_u32_e32 vcc, 3, v3
	v_cndmask_b32_e32 v0, v0, v1, vcc
	v_lshlrev_b32_e32 v0, 16, v0
	v_and_b32_e32 v0, 0x7ff0000, v0
	v_cmp_lt_u32_e32 vcc, 1, v2
	v_cndmask_b32_e32 v0, v50, v0, vcc
	v_and_or_b32 v0, v5, s76, v0
	global_store_dword v[24:25], v0, off offset:20
	v_and_b32_e32 v0, 0x70000000, v5
	v_cmp_eq_u32_e32 vcc, 0, v0
	v_cndmask_b32_e64 v8, 0, 1, vcc
.LBB1_525:                              ;   in Loop: Header=BB1_6 Depth=2
	s_or_b64 exec, exec, s[34:35]
.LBB1_526:                              ;   in Loop: Header=BB1_6 Depth=2
	s_or_b64 exec, exec, s[30:31]
.LBB1_527:                              ;   in Loop: Header=BB1_6 Depth=2
	s_or_b64 exec, exec, s[28:29]
	v_cmp_gt_i32_e32 vcc, 7, v8
	s_mov_b64 s[6:7], -1
                                        ; implicit-def: $sgpr4_sgpr5
	s_and_saveexec_b64 s[8:9], vcc
; %bb.528:                              ;   in Loop: Header=BB1_6 Depth=2
	v_cmp_eq_u32_e32 vcc, 0, v8
	s_mov_b64 s[4:5], -1
	s_orn2_b64 s[6:7], vcc, exec
; %bb.529:                              ;   in Loop: Header=BB1_6 Depth=2
	s_or_b64 exec, exec, s[8:9]
	s_orn2_b64 s[6:7], s[6:7], exec
.LBB1_530:                              ;   in Loop: Header=BB1_6 Depth=2
	s_or_b64 exec, exec, s[26:27]
	s_and_saveexec_b64 s[8:9], s[6:7]
	s_cbranch_execz .LBB1_5
; %bb.531:                              ;   in Loop: Header=BB1_6 Depth=2
	s_add_i32 s77, s77, 1
	s_cmp_eq_u32 s77, 8
	s_cselect_b64 s[6:7], -1, 0
	s_andn2_b64 s[4:5], s[4:5], exec
	s_orn2_b64 s[24:25], s[6:7], exec
	s_branch .LBB1_5
.LBB1_532:                              ;   in Loop: Header=BB1_3 Depth=1
	s_or_b64 exec, exec, s[14:15]
	s_orn2_b64 s[4:5], s[22:23], exec
.LBB1_533:                              ;   in Loop: Header=BB1_3 Depth=1
	s_or_b64 exec, exec, s[12:13]
	s_mov_b64 s[6:7], -1
	s_and_saveexec_b64 s[8:9], s[4:5]
	s_cbranch_execz .LBB1_2
; %bb.534:                              ;   in Loop: Header=BB1_3 Depth=1
	s_add_i32 s72, s72, 1
	s_cmp_eq_u32 s72, 8
	s_cselect_b64 s[4:5], -1, 0
	s_orn2_b64 s[6:7], s[4:5], exec
	s_branch .LBB1_2
.LBB1_535:
	s_endpgm
	.section	.rodata,"a",@progbits
	.p2align	6, 0x0
	.amdhsa_kernel _Z12CutEnumeratePiS_S_S_S_PN2rw3CutEii
		.amdhsa_group_segment_fixed_size 31744
		.amdhsa_private_segment_fixed_size 144
		.amdhsa_kernarg_size 312
		.amdhsa_user_sgpr_count 10
		.amdhsa_user_sgpr_private_segment_buffer 1
		.amdhsa_user_sgpr_dispatch_ptr 1
		.amdhsa_user_sgpr_queue_ptr 0
		.amdhsa_user_sgpr_kernarg_segment_ptr 1
		.amdhsa_user_sgpr_dispatch_id 0
		.amdhsa_user_sgpr_flat_scratch_init 1
		.amdhsa_user_sgpr_kernarg_preload_length 0
		.amdhsa_user_sgpr_kernarg_preload_offset 0
		.amdhsa_user_sgpr_private_segment_size 0
		.amdhsa_uses_dynamic_stack 0
		.amdhsa_system_sgpr_private_segment_wavefront_offset 1
		.amdhsa_system_sgpr_workgroup_id_x 1
		.amdhsa_system_sgpr_workgroup_id_y 0
		.amdhsa_system_sgpr_workgroup_id_z 0
		.amdhsa_system_sgpr_workgroup_info 0
		.amdhsa_system_vgpr_workitem_id 2
		.amdhsa_next_free_vgpr 67
		.amdhsa_next_free_sgpr 80
		.amdhsa_accum_offset 68
		.amdhsa_reserve_vcc 1
		.amdhsa_reserve_flat_scratch 0
		.amdhsa_float_round_mode_32 0
		.amdhsa_float_round_mode_16_64 0
		.amdhsa_float_denorm_mode_32 3
		.amdhsa_float_denorm_mode_16_64 3
		.amdhsa_dx10_clamp 1
		.amdhsa_ieee_mode 1
		.amdhsa_fp16_overflow 0
		.amdhsa_tg_split 0
		.amdhsa_exception_fp_ieee_invalid_op 0
		.amdhsa_exception_fp_denorm_src 0
		.amdhsa_exception_fp_ieee_div_zero 0
		.amdhsa_exception_fp_ieee_overflow 0
		.amdhsa_exception_fp_ieee_underflow 0
		.amdhsa_exception_fp_ieee_inexact 0
		.amdhsa_exception_int_div_zero 0
	.end_amdhsa_kernel
	.text
.Lfunc_end1:
	.size	_Z12CutEnumeratePiS_S_S_S_PN2rw3CutEii, .Lfunc_end1-_Z12CutEnumeratePiS_S_S_S_PN2rw3CutEii
                                        ; -- End function
	.section	.AMDGPU.csdata,"",@progbits
; Kernel info:
; codeLenInByte = 13396
; NumSgprs: 84
; NumVgprs: 67
; NumAgprs: 0
; TotalNumVgprs: 67
; ScratchSize: 144
; MemoryBound: 0
; FloatMode: 240
; IeeeMode: 1
; LDSByteSize: 31744 bytes/workgroup (compile time only)
; SGPRBlocks: 10
; VGPRBlocks: 8
; NumSGPRsForWavesPerEU: 84
; NumVGPRsForWavesPerEU: 67
; AccumOffset: 68
; Occupancy: 7
; WaveLimiterHint : 1
; COMPUTE_PGM_RSRC2:SCRATCH_EN: 1
; COMPUTE_PGM_RSRC2:USER_SGPR: 10
; COMPUTE_PGM_RSRC2:TRAP_HANDLER: 0
; COMPUTE_PGM_RSRC2:TGID_X_EN: 1
; COMPUTE_PGM_RSRC2:TGID_Y_EN: 0
; COMPUTE_PGM_RSRC2:TGID_Z_EN: 0
; COMPUTE_PGM_RSRC2:TIDIG_COMP_CNT: 2
; COMPUTE_PGM_RSRC3_GFX90A:ACCUM_OFFSET: 16
; COMPUTE_PGM_RSRC3_GFX90A:TG_SPLIT: 0
	.text
	.p2align	2                               ; -- Begin function _Z8CalcMFFCiPN2rw3CutEPiS2_S2_S2_S2_S2_i
	.type	_Z8CalcMFFCiPN2rw3CutEPiS2_S2_S2_S2_S2_i,@function
_Z8CalcMFFCiPN2rw3CutEPiS2_S2_S2_S2_S2_i: ; @_Z8CalcMFFCiPN2rw3CutEPiS2_S2_S2_S2_S2_i
; %bb.0:
	s_waitcnt vmcnt(0) expcnt(0) lgkmcnt(0)
	s_mov_b32 s4, s33
	s_mov_b32 s33, s32
	s_or_saveexec_b64 s[6:7], -1
	buffer_store_dword v63, off, s[0:3], s33 offset:88 ; 4-byte Folded Spill
	s_mov_b64 exec, s[6:7]
	v_writelane_b32 v63, s4, 6
	s_addk_i32 s32, 0x1800
	buffer_store_dword v40, off, s[0:3], s33 offset:84 ; 4-byte Folded Spill
	buffer_store_dword v41, off, s[0:3], s33 offset:80 ; 4-byte Folded Spill
	;; [unrolled: 1-line block ×21, first 2 shown]
	buffer_store_dword a39, off, s[0:3], s33 ; 4-byte Folded Spill
	v_writelane_b32 v63, s34, 0
	v_writelane_b32 v63, s35, 1
	;; [unrolled: 1-line block ×6, first 2 shown]
	v_mov_b32_e32 v60, v1
	v_mov_b32_e32 v45, v10
	;; [unrolled: 1-line block ×3, first 2 shown]
	v_add_co_u32_e32 v10, vcc, 4, v60
	v_accvgpr_write_b32 a33, v14
	v_mov_b32_e32 v14, v11
	v_mov_b32_e32 v44, v9
	v_addc_co_u32_e32 v11, vcc, 0, v61, vcc
	v_add_co_u32_e32 v2, vcc, 4, v44
	v_mov_b32_e32 v58, v3
	v_addc_co_u32_e32 v3, vcc, 0, v45, vcc
	v_accvgpr_write_b32 a39, v3
	v_accvgpr_write_b32 a32, v13
	v_mov_b32_e32 v13, v12
	v_mov_b32_e32 v47, v8
	;; [unrolled: 1-line block ×6, first 2 shown]
	v_accvgpr_write_b32 a38, v2
	s_mov_b64 s[34:35], 0
	v_mov_b32_e32 v43, 0
	v_mov_b32_e32 v4, 0
	s_branch .LBB2_2
.LBB2_1:                                ;   in Loop: Header=BB2_2 Depth=1
	s_or_b64 exec, exec, s[6:7]
	s_and_b64 s[4:5], exec, s[4:5]
	s_or_b64 s[34:35], s[4:5], s[34:35]
	s_andn2_b64 exec, exec, s[34:35]
	s_cbranch_execz .LBB2_54
.LBB2_2:                                ; =>This Loop Header: Depth=1
                                        ;     Child Loop BB2_5 Depth 2
                                        ;     Child Loop BB2_13 Depth 2
	;; [unrolled: 1-line block ×4, first 2 shown]
	s_waitcnt vmcnt(0) lgkmcnt(0)
	v_ashrrev_i32_e32 v1, 31, v0
	v_lshlrev_b64 v[40:41], 2, v[0:1]
	flat_load_dword v3, v[60:61] offset:20
	v_add_co_u32_e32 v0, vcc, v58, v40
	v_addc_co_u32_e32 v1, vcc, v59, v41, vcc
	flat_load_dword v2, v[0:1]
	v_mov_b32_e32 v62, v4
	s_mov_b64 s[6:7], -1
                                        ; implicit-def: $sgpr10
	s_waitcnt vmcnt(0) lgkmcnt(0)
	v_bfe_u32 v3, v3, 27, 4
	v_cmp_ne_u32_e32 vcc, 0, v3
	s_and_saveexec_b64 s[4:5], vcc
	s_cbranch_execz .LBB2_8
; %bb.3:                                ;   in Loop: Header=BB2_2 Depth=1
	s_mov_b64 s[6:7], 0
	v_pk_mov_b32 v[4:5], v[10:11], v[10:11] op_sel:[0,1]
                                        ; implicit-def: $sgpr8_sgpr9
                                        ; implicit-def: $sgpr12_sgpr13
                                        ; implicit-def: $sgpr10_sgpr11
	s_branch .LBB2_5
.LBB2_4:                                ;   in Loop: Header=BB2_5 Depth=2
	s_or_b64 exec, exec, s[14:15]
	s_xor_b64 s[14:15], s[10:11], -1
	s_and_b64 s[16:17], exec, s[12:13]
	s_or_b64 s[6:7], s[16:17], s[6:7]
	s_andn2_b64 s[8:9], s[8:9], exec
	s_and_b64 s[14:15], s[14:15], exec
	s_or_b64 s[8:9], s[8:9], s[14:15]
	s_andn2_b64 exec, exec, s[6:7]
	s_cbranch_execz .LBB2_7
.LBB2_5:                                ;   Parent Loop BB2_2 Depth=1
                                        ; =>  This Inner Loop Header: Depth=2
	flat_load_dword v6, v[4:5]
	s_or_b64 s[10:11], s[10:11], exec
	s_or_b64 s[12:13], s[12:13], exec
	s_waitcnt vmcnt(0) lgkmcnt(0)
	v_cmp_ne_u32_e32 vcc, v6, v2
	s_and_saveexec_b64 s[14:15], vcc
	s_cbranch_execz .LBB2_4
; %bb.6:                                ;   in Loop: Header=BB2_5 Depth=2
	v_add_co_u32_e32 v4, vcc, 4, v4
	v_add_u32_e32 v3, -1, v3
	v_addc_co_u32_e32 v5, vcc, 0, v5, vcc
	v_cmp_eq_u32_e32 vcc, 0, v3
	s_andn2_b64 s[12:13], s[12:13], exec
	s_and_b64 s[16:17], vcc, exec
	s_andn2_b64 s[10:11], s[10:11], exec
	s_or_b64 s[12:13], s[12:13], s[16:17]
	s_branch .LBB2_4
.LBB2_7:                                ;   in Loop: Header=BB2_2 Depth=1
	s_or_b64 exec, exec, s[6:7]
	s_mov_b32 s10, 1
	s_orn2_b64 s[6:7], s[8:9], exec
.LBB2_8:                                ;   in Loop: Header=BB2_2 Depth=1
	s_or_b64 exec, exec, s[4:5]
	v_mov_b32_e32 v6, s10
	s_and_saveexec_b64 s[4:5], s[6:7]
	s_cbranch_execz .LBB2_26
; %bb.9:                                ;   in Loop: Header=BB2_2 Depth=1
	flat_load_dword v3, v[46:47]
	s_mov_b64 s[8:9], 0
	v_mov_b32_e32 v6, 1
	s_waitcnt vmcnt(0) lgkmcnt(0)
	v_cmp_lt_i32_e32 vcc, 0, v3
	s_and_saveexec_b64 s[6:7], vcc
	s_cbranch_execz .LBB2_21
; %bb.10:                               ;   in Loop: Header=BB2_2 Depth=1
	flat_load_dword v6, v[44:45]
	s_mov_b64 s[14:15], -1
	v_pk_mov_b32 v[4:5], 0, 0
	s_mov_b64 s[10:11], -1
                                        ; implicit-def: $sgpr16
                                        ; implicit-def: $sgpr12_sgpr13
	s_waitcnt vmcnt(0) lgkmcnt(0)
	v_cmp_ne_u32_e32 vcc, v6, v2
	s_and_saveexec_b64 s[8:9], vcc
	s_cbranch_execz .LBB2_18
; %bb.11:                               ;   in Loop: Header=BB2_2 Depth=1
	v_accvgpr_read_b32 v4, a38
	v_add_u32_e32 v6, -1, v3
	s_mov_b32 s20, 0
	s_mov_b64 s[12:13], 0
	v_accvgpr_read_b32 v5, a39
                                        ; implicit-def: $sgpr10_sgpr11
                                        ; implicit-def: $sgpr16_sgpr17
                                        ; implicit-def: $sgpr14_sgpr15
	s_branch .LBB2_13
.LBB2_12:                               ;   in Loop: Header=BB2_13 Depth=2
	s_or_b64 exec, exec, s[18:19]
	s_xor_b64 s[18:19], s[14:15], -1
	s_and_b64 s[22:23], exec, s[16:17]
	s_or_b64 s[12:13], s[22:23], s[12:13]
	s_andn2_b64 s[10:11], s[10:11], exec
	s_and_b64 s[18:19], s[18:19], exec
	v_mov_b32_e32 v42, s20
	s_or_b64 s[10:11], s[10:11], s[18:19]
	s_andn2_b64 exec, exec, s[12:13]
	s_cbranch_execz .LBB2_15
.LBB2_13:                               ;   Parent Loop BB2_2 Depth=1
                                        ; =>  This Inner Loop Header: Depth=2
	v_cmp_ne_u32_e32 vcc, s20, v6
	s_or_b64 s[14:15], s[14:15], exec
	s_or_b64 s[16:17], s[16:17], exec
	s_and_saveexec_b64 s[18:19], vcc
	s_cbranch_execz .LBB2_12
; %bb.14:                               ;   in Loop: Header=BB2_13 Depth=2
	flat_load_dword v7, v[4:5]
	v_add_co_u32_e32 v4, vcc, 4, v4
	v_addc_co_u32_e32 v5, vcc, 0, v5, vcc
	s_andn2_b64 s[16:17], s[16:17], exec
	s_add_i32 s20, s20, 1
	s_andn2_b64 s[14:15], s[14:15], exec
	s_waitcnt vmcnt(0) lgkmcnt(0)
	v_cmp_eq_u32_e32 vcc, v7, v2
	s_and_b64 s[22:23], vcc, exec
	s_or_b64 s[16:17], s[16:17], s[22:23]
	s_branch .LBB2_12
.LBB2_15:                               ;   in Loop: Header=BB2_2 Depth=1
	s_or_b64 exec, exec, s[12:13]
	s_mov_b64 s[14:15], -1
	s_mov_b64 s[12:13], 0
	s_mov_b32 s16, 1
	v_pk_mov_b32 v[4:5], 0, 0
	s_and_saveexec_b64 s[18:19], s[10:11]
	s_xor_b64 s[10:11], exec, s[18:19]
; %bb.16:                               ;   in Loop: Header=BB2_2 Depth=1
	v_cmp_lt_i32_e32 vcc, v42, v3
	s_mov_b64 s[12:13], exec
	s_orn2_b64 s[14:15], vcc, exec
	v_pk_mov_b32 v[4:5], v[42:43], v[42:43] op_sel:[0,1]
                                        ; implicit-def: $sgpr16
; %bb.17:                               ;   in Loop: Header=BB2_2 Depth=1
	s_or_b64 exec, exec, s[10:11]
	s_orn2_b64 s[10:11], s[14:15], exec
	s_orn2_b64 s[14:15], s[12:13], exec
.LBB2_18:                               ;   in Loop: Header=BB2_2 Depth=1
	s_or_b64 exec, exec, s[8:9]
	v_mov_b32_e32 v6, s16
	s_and_saveexec_b64 s[8:9], s[14:15]
	s_cbranch_execz .LBB2_20
; %bb.19:                               ;   in Loop: Header=BB2_2 Depth=1
	v_lshlrev_b64 v[4:5], 2, v[4:5]
	v_add_co_u32_e32 v4, vcc, v14, v4
	v_addc_co_u32_e32 v5, vcc, v13, v5, vcc
	flat_load_dword v3, v[4:5]
	s_andn2_b64 s[12:13], s[12:13], exec
	s_and_b64 s[10:11], s[10:11], exec
	s_or_b64 s[12:13], s[12:13], s[10:11]
	s_waitcnt vmcnt(0) lgkmcnt(0)
	v_add_u32_e32 v6, -1, v3
	flat_store_dword v[4:5], v6
.LBB2_20:                               ;   in Loop: Header=BB2_2 Depth=1
	s_or_b64 exec, exec, s[8:9]
	s_and_b64 s[8:9], s[12:13], exec
.LBB2_21:                               ;   in Loop: Header=BB2_2 Depth=1
	s_or_b64 exec, exec, s[6:7]
	s_xor_b64 s[8:9], s[8:9], -1
	s_and_saveexec_b64 s[6:7], s[8:9]
	s_cbranch_execz .LBB2_25
; %bb.22:                               ;   in Loop: Header=BB2_2 Depth=1
	flat_load_dword v4, v[46:47]
	v_mov_b32_e32 v6, 1
	s_waitcnt vmcnt(0) lgkmcnt(0)
	v_cmp_ne_u32_e32 vcc, 8, v4
	s_and_saveexec_b64 s[8:9], vcc
	s_cbranch_execz .LBB2_24
; %bb.23:                               ;   in Loop: Header=BB2_2 Depth=1
	v_ashrrev_i32_e32 v5, 31, v4
	v_lshlrev_b64 v[4:5], 2, v[4:5]
	v_add_co_u32_e32 v4, vcc, v44, v4
	v_addc_co_u32_e32 v5, vcc, v45, v5, vcc
	v_ashrrev_i32_e32 v3, 31, v2
	flat_store_dword v[4:5], v2
	v_lshlrev_b64 v[2:3], 2, v[2:3]
	v_accvgpr_read_b32 v4, a32
	v_add_co_u32_e32 v2, vcc, v4, v2
	v_accvgpr_read_b32 v5, a33
	v_addc_co_u32_e32 v3, vcc, v5, v3, vcc
	flat_load_dword v5, v[2:3]
	flat_load_dword v4, v[46:47]
	s_waitcnt vmcnt(0) lgkmcnt(0)
	v_add_u32_e32 v6, -1, v5
	v_ashrrev_i32_e32 v5, 31, v4
	v_lshlrev_b64 v[4:5], 2, v[4:5]
	v_add_co_u32_e32 v4, vcc, v14, v4
	v_addc_co_u32_e32 v5, vcc, v13, v5, vcc
	flat_store_dword v[4:5], v6
	flat_load_dword v4, v[46:47]
	s_waitcnt vmcnt(0) lgkmcnt(0)
	v_add_u32_e32 v4, 1, v4
	flat_store_dword v[46:47], v4
	flat_load_dword v2, v[2:3]
	s_waitcnt vmcnt(0) lgkmcnt(0)
	v_add_u32_e32 v6, -1, v2
.LBB2_24:                               ;   in Loop: Header=BB2_2 Depth=1
	s_or_b64 exec, exec, s[8:9]
.LBB2_25:                               ;   in Loop: Header=BB2_2 Depth=1
	s_or_b64 exec, exec, s[6:7]
.LBB2_26:                               ;   in Loop: Header=BB2_2 Depth=1
	s_or_b64 exec, exec, s[4:5]
	v_cmp_eq_u32_e32 vcc, 0, v6
	v_mov_b32_e32 v6, 1
	s_and_saveexec_b64 s[36:37], vcc
	s_cbranch_execz .LBB2_28
; %bb.27:                               ;   in Loop: Header=BB2_2 Depth=1
	flat_load_dword v0, v[0:1]
	v_accvgpr_write_b32 a37, v11
	v_mov_b32_e32 v1, v60
	v_mov_b32_e32 v2, v61
	;; [unrolled: 1-line block ×9, first 2 shown]
	v_accvgpr_write_b32 a36, v10
	v_mov_b32_e32 v10, v45
	v_mov_b32_e32 v11, v14
	v_accvgpr_write_b32 a35, v13
	v_mov_b32_e32 v12, v13
	v_mov_b32_e32 v42, v14
	v_accvgpr_read_b32 v13, a32
	v_accvgpr_read_b32 v14, a33
	s_getpc_b64 s[4:5]
	s_add_u32 s4, s4, _Z8CalcMFFCiPN2rw3CutEPiS2_S2_S2_S2_S2_i@rel32@lo+4
	s_addc_u32 s5, s5, _Z8CalcMFFCiPN2rw3CutEPiS2_S2_S2_S2_S2_i@rel32@hi+12
	s_swappc_b64 s[30:31], s[4:5]
	v_accvgpr_read_b32 v10, a36
	v_accvgpr_read_b32 v11, a37
	v_mov_b32_e32 v14, v42
	v_accvgpr_read_b32 v13, a35
	v_add_u32_e32 v6, 1, v0
.LBB2_28:                               ;   in Loop: Header=BB2_2 Depth=1
	s_or_b64 exec, exec, s[36:37]
	flat_load_dword v1, v[60:61] offset:20
	v_add_co_u32_e32 v2, vcc, v56, v40
	v_addc_co_u32_e32 v3, vcc, v57, v41, vcc
	flat_load_dword v0, v[2:3]
	s_mov_b64 s[6:7], -1
                                        ; implicit-def: $sgpr10
	s_waitcnt vmcnt(0) lgkmcnt(0)
	v_bfe_u32 v1, v1, 27, 4
	v_cmp_ne_u32_e32 vcc, 0, v1
	s_and_saveexec_b64 s[4:5], vcc
	s_cbranch_execz .LBB2_34
; %bb.29:                               ;   in Loop: Header=BB2_2 Depth=1
	s_mov_b64 s[6:7], 0
	v_pk_mov_b32 v[4:5], v[10:11], v[10:11] op_sel:[0,1]
                                        ; implicit-def: $sgpr8_sgpr9
                                        ; implicit-def: $sgpr12_sgpr13
                                        ; implicit-def: $sgpr10_sgpr11
	s_branch .LBB2_31
.LBB2_30:                               ;   in Loop: Header=BB2_31 Depth=2
	s_or_b64 exec, exec, s[14:15]
	s_xor_b64 s[14:15], s[10:11], -1
	s_and_b64 s[16:17], exec, s[12:13]
	s_or_b64 s[6:7], s[16:17], s[6:7]
	s_andn2_b64 s[8:9], s[8:9], exec
	s_and_b64 s[14:15], s[14:15], exec
	s_or_b64 s[8:9], s[8:9], s[14:15]
	s_andn2_b64 exec, exec, s[6:7]
	s_cbranch_execz .LBB2_33
.LBB2_31:                               ;   Parent Loop BB2_2 Depth=1
                                        ; =>  This Inner Loop Header: Depth=2
	flat_load_dword v7, v[4:5]
	s_or_b64 s[10:11], s[10:11], exec
	s_or_b64 s[12:13], s[12:13], exec
	s_waitcnt vmcnt(0) lgkmcnt(0)
	v_cmp_ne_u32_e32 vcc, v7, v0
	s_and_saveexec_b64 s[14:15], vcc
	s_cbranch_execz .LBB2_30
; %bb.32:                               ;   in Loop: Header=BB2_31 Depth=2
	v_add_co_u32_e32 v4, vcc, 4, v4
	v_add_u32_e32 v1, -1, v1
	v_addc_co_u32_e32 v5, vcc, 0, v5, vcc
	v_cmp_eq_u32_e32 vcc, 0, v1
	s_andn2_b64 s[12:13], s[12:13], exec
	s_and_b64 s[16:17], vcc, exec
	s_andn2_b64 s[10:11], s[10:11], exec
	s_or_b64 s[12:13], s[12:13], s[16:17]
	s_branch .LBB2_30
.LBB2_33:                               ;   in Loop: Header=BB2_2 Depth=1
	s_or_b64 exec, exec, s[6:7]
	s_mov_b32 s10, 1
	s_orn2_b64 s[6:7], s[8:9], exec
.LBB2_34:                               ;   in Loop: Header=BB2_2 Depth=1
	s_or_b64 exec, exec, s[4:5]
	v_mov_b32_e32 v7, s10
	s_and_saveexec_b64 s[4:5], s[6:7]
	s_cbranch_execz .LBB2_52
; %bb.35:                               ;   in Loop: Header=BB2_2 Depth=1
	flat_load_dword v1, v[46:47]
	s_mov_b64 s[8:9], 0
	v_mov_b32_e32 v7, 1
	s_waitcnt vmcnt(0) lgkmcnt(0)
	v_cmp_lt_i32_e32 vcc, 0, v1
	s_and_saveexec_b64 s[6:7], vcc
	s_cbranch_execz .LBB2_47
; %bb.36:                               ;   in Loop: Header=BB2_2 Depth=1
	flat_load_dword v7, v[44:45]
	s_mov_b64 s[14:15], -1
	v_pk_mov_b32 v[4:5], 0, 0
	s_mov_b64 s[10:11], -1
                                        ; implicit-def: $sgpr16
                                        ; implicit-def: $sgpr12_sgpr13
	s_waitcnt vmcnt(0) lgkmcnt(0)
	v_cmp_ne_u32_e32 vcc, v7, v0
	s_and_saveexec_b64 s[8:9], vcc
	s_cbranch_execz .LBB2_44
; %bb.37:                               ;   in Loop: Header=BB2_2 Depth=1
	v_accvgpr_read_b32 v4, a38
	v_add_u32_e32 v7, -1, v1
	s_mov_b32 s20, 0
	s_mov_b64 s[12:13], 0
	v_accvgpr_read_b32 v5, a39
                                        ; implicit-def: $sgpr10_sgpr11
                                        ; implicit-def: $sgpr16_sgpr17
                                        ; implicit-def: $sgpr14_sgpr15
	s_branch .LBB2_39
.LBB2_38:                               ;   in Loop: Header=BB2_39 Depth=2
	s_or_b64 exec, exec, s[18:19]
	s_xor_b64 s[18:19], s[14:15], -1
	s_and_b64 s[22:23], exec, s[16:17]
	s_or_b64 s[12:13], s[22:23], s[12:13]
	s_andn2_b64 s[10:11], s[10:11], exec
	s_and_b64 s[18:19], s[18:19], exec
	v_mov_b32_e32 v42, s20
	s_or_b64 s[10:11], s[10:11], s[18:19]
	s_andn2_b64 exec, exec, s[12:13]
	s_cbranch_execz .LBB2_41
.LBB2_39:                               ;   Parent Loop BB2_2 Depth=1
                                        ; =>  This Inner Loop Header: Depth=2
	v_cmp_ne_u32_e32 vcc, s20, v7
	s_or_b64 s[14:15], s[14:15], exec
	s_or_b64 s[16:17], s[16:17], exec
	s_and_saveexec_b64 s[18:19], vcc
	s_cbranch_execz .LBB2_38
; %bb.40:                               ;   in Loop: Header=BB2_39 Depth=2
	flat_load_dword v8, v[4:5]
	v_add_co_u32_e32 v4, vcc, 4, v4
	v_addc_co_u32_e32 v5, vcc, 0, v5, vcc
	s_andn2_b64 s[16:17], s[16:17], exec
	s_add_i32 s20, s20, 1
	s_andn2_b64 s[14:15], s[14:15], exec
	s_waitcnt vmcnt(0) lgkmcnt(0)
	v_cmp_eq_u32_e32 vcc, v8, v0
	s_and_b64 s[22:23], vcc, exec
	s_or_b64 s[16:17], s[16:17], s[22:23]
	s_branch .LBB2_38
.LBB2_41:                               ;   in Loop: Header=BB2_2 Depth=1
	s_or_b64 exec, exec, s[12:13]
	s_mov_b64 s[14:15], -1
	s_mov_b64 s[12:13], 0
	s_mov_b32 s16, 1
	v_pk_mov_b32 v[4:5], 0, 0
	s_and_saveexec_b64 s[18:19], s[10:11]
	s_xor_b64 s[10:11], exec, s[18:19]
; %bb.42:                               ;   in Loop: Header=BB2_2 Depth=1
	v_cmp_lt_i32_e32 vcc, v42, v1
	s_mov_b64 s[12:13], exec
	s_orn2_b64 s[14:15], vcc, exec
	v_pk_mov_b32 v[4:5], v[42:43], v[42:43] op_sel:[0,1]
                                        ; implicit-def: $sgpr16
; %bb.43:                               ;   in Loop: Header=BB2_2 Depth=1
	s_or_b64 exec, exec, s[10:11]
	s_orn2_b64 s[10:11], s[14:15], exec
	s_orn2_b64 s[14:15], s[12:13], exec
.LBB2_44:                               ;   in Loop: Header=BB2_2 Depth=1
	s_or_b64 exec, exec, s[8:9]
	v_mov_b32_e32 v7, s16
	s_and_saveexec_b64 s[8:9], s[14:15]
	s_cbranch_execz .LBB2_46
; %bb.45:                               ;   in Loop: Header=BB2_2 Depth=1
	v_lshlrev_b64 v[4:5], 2, v[4:5]
	v_add_co_u32_e32 v4, vcc, v14, v4
	v_addc_co_u32_e32 v5, vcc, v13, v5, vcc
	flat_load_dword v1, v[4:5]
	s_andn2_b64 s[12:13], s[12:13], exec
	s_and_b64 s[10:11], s[10:11], exec
	s_or_b64 s[12:13], s[12:13], s[10:11]
	s_waitcnt vmcnt(0) lgkmcnt(0)
	v_add_u32_e32 v7, -1, v1
	flat_store_dword v[4:5], v7
.LBB2_46:                               ;   in Loop: Header=BB2_2 Depth=1
	s_or_b64 exec, exec, s[8:9]
	s_and_b64 s[8:9], s[12:13], exec
.LBB2_47:                               ;   in Loop: Header=BB2_2 Depth=1
	s_or_b64 exec, exec, s[6:7]
	s_xor_b64 s[8:9], s[8:9], -1
	s_and_saveexec_b64 s[6:7], s[8:9]
	s_cbranch_execz .LBB2_51
; %bb.48:                               ;   in Loop: Header=BB2_2 Depth=1
	flat_load_dword v4, v[46:47]
	v_mov_b32_e32 v7, 1
	s_waitcnt vmcnt(0) lgkmcnt(0)
	v_cmp_ne_u32_e32 vcc, 8, v4
	s_and_saveexec_b64 s[8:9], vcc
	s_cbranch_execz .LBB2_50
; %bb.49:                               ;   in Loop: Header=BB2_2 Depth=1
	v_ashrrev_i32_e32 v5, 31, v4
	v_lshlrev_b64 v[4:5], 2, v[4:5]
	v_add_co_u32_e32 v4, vcc, v44, v4
	v_addc_co_u32_e32 v5, vcc, v45, v5, vcc
	v_ashrrev_i32_e32 v1, 31, v0
	flat_store_dword v[4:5], v0
	v_lshlrev_b64 v[0:1], 2, v[0:1]
	v_accvgpr_read_b32 v4, a32
	v_add_co_u32_e32 v0, vcc, v4, v0
	v_accvgpr_read_b32 v5, a33
	v_addc_co_u32_e32 v1, vcc, v5, v1, vcc
	flat_load_dword v5, v[0:1]
	flat_load_dword v4, v[46:47]
	s_waitcnt vmcnt(0) lgkmcnt(0)
	v_add_u32_e32 v7, -1, v5
	v_ashrrev_i32_e32 v5, 31, v4
	v_lshlrev_b64 v[4:5], 2, v[4:5]
	v_add_co_u32_e32 v4, vcc, v14, v4
	v_addc_co_u32_e32 v5, vcc, v13, v5, vcc
	flat_store_dword v[4:5], v7
	flat_load_dword v4, v[46:47]
	s_waitcnt vmcnt(0) lgkmcnt(0)
	v_add_u32_e32 v4, 1, v4
	flat_store_dword v[46:47], v4
	flat_load_dword v0, v[0:1]
	s_waitcnt vmcnt(0) lgkmcnt(0)
	v_add_u32_e32 v7, -1, v0
.LBB2_50:                               ;   in Loop: Header=BB2_2 Depth=1
	s_or_b64 exec, exec, s[8:9]
.LBB2_51:                               ;   in Loop: Header=BB2_2 Depth=1
	s_or_b64 exec, exec, s[6:7]
.LBB2_52:                               ;   in Loop: Header=BB2_2 Depth=1
	s_or_b64 exec, exec, s[4:5]
	v_cmp_eq_u32_e32 vcc, 0, v7
	s_mov_b64 s[4:5], -1
                                        ; implicit-def: $vgpr0
                                        ; implicit-def: $vgpr4
	s_and_saveexec_b64 s[6:7], vcc
	s_cbranch_execz .LBB2_1
; %bb.53:                               ;   in Loop: Header=BB2_2 Depth=1
	flat_load_dword v0, v[2:3]
	v_add_u32_e32 v4, v6, v62
	s_xor_b64 s[4:5], exec, -1
	s_branch .LBB2_1
.LBB2_54:
	s_or_b64 exec, exec, s[34:35]
	s_waitcnt vmcnt(0) lgkmcnt(0)
	v_add_u32_e32 v0, v6, v62
	buffer_load_dword a39, off, s[0:3], s33 ; 4-byte Folded Reload
	buffer_load_dword a38, off, s[0:3], s33 offset:4 ; 4-byte Folded Reload
	buffer_load_dword a37, off, s[0:3], s33 offset:8 ; 4-byte Folded Reload
	;; [unrolled: 1-line block ×21, first 2 shown]
	v_readlane_b32 s30, v63, 4
	v_readlane_b32 s31, v63, 5
	;; [unrolled: 1-line block ×7, first 2 shown]
	s_or_saveexec_b64 s[6:7], -1
	buffer_load_dword v63, off, s[0:3], s33 offset:88 ; 4-byte Folded Reload
	s_mov_b64 exec, s[6:7]
	s_addk_i32 s32, 0xe800
	s_mov_b32 s33, s4
	s_waitcnt vmcnt(0)
	s_setpc_b64 s[30:31]
.Lfunc_end2:
	.size	_Z8CalcMFFCiPN2rw3CutEPiS2_S2_S2_S2_S2_i, .Lfunc_end2-_Z8CalcMFFCiPN2rw3CutEPiS2_S2_S2_S2_S2_i
                                        ; -- End function
	.section	.AMDGPU.csdata,"",@progbits
; Function info:
; codeLenInByte = 2432
; NumSgprs: 42
; NumVgprs: 64
; NumAgprs: 40
; TotalNumVgprs: 104
; ScratchSize: 96
; MemoryBound: 0
	.text
	.p2align	2                               ; -- Begin function __ockl_fprintf_append_string_n
	.type	__ockl_fprintf_append_string_n,@function
__ockl_fprintf_append_string_n:         ; @__ockl_fprintf_append_string_n
; %bb.0:
	s_waitcnt vmcnt(0) expcnt(0) lgkmcnt(0)
	v_mov_b32_e32 v9, v3
	v_mov_b32_e32 v8, v2
	v_or_b32_e32 v2, 2, v0
	v_cmp_eq_u32_e32 vcc, 0, v6
	s_mov_b32 s22, 0
	v_cndmask_b32_e32 v0, v2, v0, vcc
	s_mov_b64 s[6:7], 0
	v_cmp_ne_u64_e32 vcc, 0, v[8:9]
	v_mbcnt_lo_u32_b32 v2, -1, 0
	s_and_saveexec_b64 s[4:5], vcc
	s_xor_b64 s[10:11], exec, s[4:5]
	s_cbranch_execz .LBB3_86
; %bb.1:
	s_load_dwordx2 s[12:13], s[8:9], 0x50
	v_and_b32_e32 v6, 2, v0
	v_mov_b32_e32 v31, 0
	v_and_b32_e32 v0, -3, v0
	v_mbcnt_hi_u32_b32 v32, -1, v2
	s_movk_i32 s23, 0xff1f
	v_mov_b32_e32 v12, 2
	v_mov_b32_e32 v13, 1
	s_branch .LBB3_3
.LBB3_2:                                ;   in Loop: Header=BB3_3 Depth=1
	s_or_b64 exec, exec, s[16:17]
	v_sub_co_u32_e32 v4, vcc, v4, v34
	v_subb_co_u32_e32 v5, vcc, v5, v35, vcc
	v_cmp_eq_u64_e32 vcc, 0, v[4:5]
	s_or_b64 s[6:7], vcc, s[6:7]
	v_add_co_u32_e32 v8, vcc, v8, v34
	v_addc_co_u32_e32 v9, vcc, v9, v35, vcc
	s_andn2_b64 exec, exec, s[6:7]
	s_cbranch_execz .LBB3_85
.LBB3_3:                                ; =>This Loop Header: Depth=1
                                        ;     Child Loop BB3_6 Depth 2
                                        ;     Child Loop BB3_14 Depth 2
	;; [unrolled: 1-line block ×11, first 2 shown]
	v_cmp_gt_u64_e32 vcc, 56, v[4:5]
	v_cndmask_b32_e32 v35, 0, v5, vcc
	v_cndmask_b32_e32 v34, 56, v4, vcc
	v_cmp_gt_u64_e32 vcc, 8, v[4:5]
                                        ; implicit-def: $vgpr2_vgpr3
                                        ; implicit-def: $sgpr14
	s_and_saveexec_b64 s[4:5], vcc
	s_xor_b64 s[4:5], exec, s[4:5]
	s_cbranch_execz .LBB3_9
; %bb.4:                                ;   in Loop: Header=BB3_3 Depth=1
	s_mov_b64 s[16:17], 0
	v_cmp_ne_u64_e32 vcc, 0, v[4:5]
	s_waitcnt vmcnt(0)
	v_pk_mov_b32 v[2:3], 0, 0
	s_and_saveexec_b64 s[14:15], vcc
	s_cbranch_execz .LBB3_8
; %bb.5:                                ;   in Loop: Header=BB3_3 Depth=1
	v_lshlrev_b64 v[10:11], 3, v[34:35]
	v_pk_mov_b32 v[2:3], 0, 0
	v_pk_mov_b32 v[14:15], v[8:9], v[8:9] op_sel:[0,1]
	s_mov_b64 s[18:19], 0
.LBB3_6:                                ;   Parent Loop BB3_3 Depth=1
                                        ; =>  This Inner Loop Header: Depth=2
	flat_load_ubyte v7, v[14:15]
	v_mov_b32_e32 v17, s22
	v_add_co_u32_e32 v14, vcc, 1, v14
	v_addc_co_u32_e32 v15, vcc, 0, v15, vcc
	s_waitcnt vmcnt(0) lgkmcnt(0)
	v_and_b32_e32 v16, 0xffff, v7
	v_lshlrev_b64 v[16:17], s18, v[16:17]
	s_add_u32 s18, s18, 8
	s_addc_u32 s19, s19, 0
	v_cmp_eq_u32_e32 vcc, s18, v10
	v_or_b32_e32 v3, v17, v3
	s_or_b64 s[16:17], vcc, s[16:17]
	v_or_b32_e32 v2, v16, v2
	s_andn2_b64 exec, exec, s[16:17]
	s_cbranch_execnz .LBB3_6
; %bb.7:                                ;   in Loop: Header=BB3_3 Depth=1
	s_or_b64 exec, exec, s[16:17]
.LBB3_8:                                ;   in Loop: Header=BB3_3 Depth=1
	s_or_b64 exec, exec, s[14:15]
	s_mov_b32 s14, 0
.LBB3_9:                                ;   in Loop: Header=BB3_3 Depth=1
	s_or_saveexec_b64 s[4:5], s[4:5]
	v_mov_b32_e32 v7, s14
	v_pk_mov_b32 v[10:11], v[8:9], v[8:9] op_sel:[0,1]
	s_xor_b64 exec, exec, s[4:5]
	s_cbranch_execz .LBB3_11
; %bb.10:                               ;   in Loop: Header=BB3_3 Depth=1
	s_waitcnt vmcnt(0)
	flat_load_dwordx2 v[2:3], v[8:9]
	v_add_u32_e32 v7, -8, v34
	s_waitcnt vmcnt(0) lgkmcnt(0)
	v_and_b32_e32 v10, 0xff, v3
	v_and_b32_e32 v11, 0xff00, v3
	;; [unrolled: 1-line block ×4, first 2 shown]
	v_or_b32_e32 v10, v10, v11
	v_or3_b32 v3, v10, v14, v3
	v_add_co_u32_e32 v10, vcc, 8, v8
	v_or3_b32 v2, v2, 0, 0
	v_addc_co_u32_e32 v11, vcc, 0, v9, vcc
.LBB3_11:                               ;   in Loop: Header=BB3_3 Depth=1
	s_or_b64 exec, exec, s[4:5]
	v_cmp_gt_u32_e32 vcc, 8, v7
                                        ; implicit-def: $vgpr14_vgpr15
                                        ; implicit-def: $sgpr14
	s_and_saveexec_b64 s[4:5], vcc
	s_xor_b64 s[4:5], exec, s[4:5]
	s_cbranch_execz .LBB3_17
; %bb.12:                               ;   in Loop: Header=BB3_3 Depth=1
	v_cmp_ne_u32_e32 vcc, 0, v7
	v_pk_mov_b32 v[14:15], 0, 0
	s_and_saveexec_b64 s[14:15], vcc
	s_cbranch_execz .LBB3_16
; %bb.13:                               ;   in Loop: Header=BB3_3 Depth=1
	s_mov_b64 s[16:17], 0
	v_pk_mov_b32 v[14:15], 0, 0
	s_mov_b64 s[18:19], 0
	s_mov_b64 s[20:21], 0
.LBB3_14:                               ;   Parent Loop BB3_3 Depth=1
                                        ; =>  This Inner Loop Header: Depth=2
	v_mov_b32_e32 v17, s21
	v_add_co_u32_e32 v16, vcc, s20, v10
	v_addc_co_u32_e32 v17, vcc, v11, v17, vcc
	flat_load_ubyte v16, v[16:17]
	s_add_u32 s20, s20, 1
	v_mov_b32_e32 v17, s22
	s_addc_u32 s21, s21, 0
	v_cmp_eq_u32_e32 vcc, s20, v7
	s_waitcnt vmcnt(0) lgkmcnt(0)
	v_and_b32_e32 v16, 0xffff, v16
	v_lshlrev_b64 v[16:17], s18, v[16:17]
	s_add_u32 s18, s18, 8
	s_addc_u32 s19, s19, 0
	v_or_b32_e32 v15, v17, v15
	s_or_b64 s[16:17], vcc, s[16:17]
	v_or_b32_e32 v14, v16, v14
	s_andn2_b64 exec, exec, s[16:17]
	s_cbranch_execnz .LBB3_14
; %bb.15:                               ;   in Loop: Header=BB3_3 Depth=1
	s_or_b64 exec, exec, s[16:17]
.LBB3_16:                               ;   in Loop: Header=BB3_3 Depth=1
	s_or_b64 exec, exec, s[14:15]
	s_mov_b32 s14, 0
                                        ; implicit-def: $vgpr7
.LBB3_17:                               ;   in Loop: Header=BB3_3 Depth=1
	s_or_saveexec_b64 s[4:5], s[4:5]
	v_mov_b32_e32 v18, s14
	s_xor_b64 exec, exec, s[4:5]
	s_cbranch_execz .LBB3_19
; %bb.18:                               ;   in Loop: Header=BB3_3 Depth=1
	flat_load_dwordx2 v[14:15], v[10:11]
	v_add_u32_e32 v18, -8, v7
	v_add_co_u32_e32 v10, vcc, 8, v10
	v_addc_co_u32_e32 v11, vcc, 0, v11, vcc
	s_waitcnt vmcnt(0) lgkmcnt(0)
	v_and_b32_e32 v7, 0xff, v15
	v_and_b32_e32 v16, 0xff00, v15
	;; [unrolled: 1-line block ×4, first 2 shown]
	v_or_b32_e32 v7, v7, v16
	v_or3_b32 v14, v14, 0, 0
	v_or3_b32 v15, v7, v17, v15
.LBB3_19:                               ;   in Loop: Header=BB3_3 Depth=1
	s_or_b64 exec, exec, s[4:5]
	v_cmp_gt_u32_e32 vcc, 8, v18
                                        ; implicit-def: $sgpr14
	s_and_saveexec_b64 s[4:5], vcc
	s_xor_b64 s[4:5], exec, s[4:5]
	s_cbranch_execz .LBB3_25
; %bb.20:                               ;   in Loop: Header=BB3_3 Depth=1
	v_cmp_ne_u32_e32 vcc, 0, v18
	v_pk_mov_b32 v[16:17], 0, 0
	s_and_saveexec_b64 s[14:15], vcc
	s_cbranch_execz .LBB3_24
; %bb.21:                               ;   in Loop: Header=BB3_3 Depth=1
	s_mov_b64 s[16:17], 0
	v_pk_mov_b32 v[16:17], 0, 0
	s_mov_b64 s[18:19], 0
	s_mov_b64 s[20:21], 0
.LBB3_22:                               ;   Parent Loop BB3_3 Depth=1
                                        ; =>  This Inner Loop Header: Depth=2
	v_mov_b32_e32 v7, s21
	v_add_co_u32_e32 v20, vcc, s20, v10
	v_addc_co_u32_e32 v21, vcc, v11, v7, vcc
	flat_load_ubyte v7, v[20:21]
	s_add_u32 s20, s20, 1
	v_mov_b32_e32 v21, s22
	s_addc_u32 s21, s21, 0
	v_cmp_eq_u32_e32 vcc, s20, v18
	s_waitcnt vmcnt(0) lgkmcnt(0)
	v_and_b32_e32 v20, 0xffff, v7
	v_lshlrev_b64 v[20:21], s18, v[20:21]
	s_add_u32 s18, s18, 8
	s_addc_u32 s19, s19, 0
	v_or_b32_e32 v17, v21, v17
	s_or_b64 s[16:17], vcc, s[16:17]
	v_or_b32_e32 v16, v20, v16
	s_andn2_b64 exec, exec, s[16:17]
	s_cbranch_execnz .LBB3_22
; %bb.23:                               ;   in Loop: Header=BB3_3 Depth=1
	s_or_b64 exec, exec, s[16:17]
.LBB3_24:                               ;   in Loop: Header=BB3_3 Depth=1
	s_or_b64 exec, exec, s[14:15]
	s_mov_b32 s14, 0
                                        ; implicit-def: $vgpr18
.LBB3_25:                               ;   in Loop: Header=BB3_3 Depth=1
	s_or_saveexec_b64 s[4:5], s[4:5]
	v_mov_b32_e32 v7, s14
	s_xor_b64 exec, exec, s[4:5]
	s_cbranch_execz .LBB3_27
; %bb.26:                               ;   in Loop: Header=BB3_3 Depth=1
	flat_load_dwordx2 v[16:17], v[10:11]
	v_add_u32_e32 v7, -8, v18
	v_add_co_u32_e32 v10, vcc, 8, v10
	v_addc_co_u32_e32 v11, vcc, 0, v11, vcc
	s_waitcnt vmcnt(0) lgkmcnt(0)
	v_and_b32_e32 v18, 0xff, v17
	v_and_b32_e32 v19, 0xff00, v17
	v_and_b32_e32 v20, 0xff0000, v17
	v_and_b32_e32 v17, 0xff000000, v17
	v_or_b32_e32 v18, v18, v19
	v_or3_b32 v16, v16, 0, 0
	v_or3_b32 v17, v18, v20, v17
.LBB3_27:                               ;   in Loop: Header=BB3_3 Depth=1
	s_or_b64 exec, exec, s[4:5]
	v_cmp_gt_u32_e32 vcc, 8, v7
                                        ; implicit-def: $vgpr18_vgpr19
                                        ; implicit-def: $sgpr14
	s_and_saveexec_b64 s[4:5], vcc
	s_xor_b64 s[4:5], exec, s[4:5]
	s_cbranch_execz .LBB3_33
; %bb.28:                               ;   in Loop: Header=BB3_3 Depth=1
	v_cmp_ne_u32_e32 vcc, 0, v7
	v_pk_mov_b32 v[18:19], 0, 0
	s_and_saveexec_b64 s[14:15], vcc
	s_cbranch_execz .LBB3_32
; %bb.29:                               ;   in Loop: Header=BB3_3 Depth=1
	s_mov_b64 s[16:17], 0
	v_pk_mov_b32 v[18:19], 0, 0
	s_mov_b64 s[18:19], 0
	s_mov_b64 s[20:21], 0
.LBB3_30:                               ;   Parent Loop BB3_3 Depth=1
                                        ; =>  This Inner Loop Header: Depth=2
	v_mov_b32_e32 v21, s21
	v_add_co_u32_e32 v20, vcc, s20, v10
	v_addc_co_u32_e32 v21, vcc, v11, v21, vcc
	flat_load_ubyte v20, v[20:21]
	s_add_u32 s20, s20, 1
	v_mov_b32_e32 v21, s22
	s_addc_u32 s21, s21, 0
	v_cmp_eq_u32_e32 vcc, s20, v7
	s_waitcnt vmcnt(0) lgkmcnt(0)
	v_and_b32_e32 v20, 0xffff, v20
	v_lshlrev_b64 v[20:21], s18, v[20:21]
	s_add_u32 s18, s18, 8
	s_addc_u32 s19, s19, 0
	v_or_b32_e32 v19, v21, v19
	s_or_b64 s[16:17], vcc, s[16:17]
	v_or_b32_e32 v18, v20, v18
	s_andn2_b64 exec, exec, s[16:17]
	s_cbranch_execnz .LBB3_30
; %bb.31:                               ;   in Loop: Header=BB3_3 Depth=1
	s_or_b64 exec, exec, s[16:17]
.LBB3_32:                               ;   in Loop: Header=BB3_3 Depth=1
	s_or_b64 exec, exec, s[14:15]
	s_mov_b32 s14, 0
                                        ; implicit-def: $vgpr7
.LBB3_33:                               ;   in Loop: Header=BB3_3 Depth=1
	s_or_saveexec_b64 s[4:5], s[4:5]
	v_mov_b32_e32 v22, s14
	s_xor_b64 exec, exec, s[4:5]
	s_cbranch_execz .LBB3_35
; %bb.34:                               ;   in Loop: Header=BB3_3 Depth=1
	flat_load_dwordx2 v[18:19], v[10:11]
	v_add_u32_e32 v22, -8, v7
	v_add_co_u32_e32 v10, vcc, 8, v10
	v_addc_co_u32_e32 v11, vcc, 0, v11, vcc
	s_waitcnt vmcnt(0) lgkmcnt(0)
	v_and_b32_e32 v7, 0xff, v19
	v_and_b32_e32 v20, 0xff00, v19
	;; [unrolled: 1-line block ×4, first 2 shown]
	v_or_b32_e32 v7, v7, v20
	v_or3_b32 v18, v18, 0, 0
	v_or3_b32 v19, v7, v21, v19
.LBB3_35:                               ;   in Loop: Header=BB3_3 Depth=1
	s_or_b64 exec, exec, s[4:5]
	v_cmp_gt_u32_e32 vcc, 8, v22
                                        ; implicit-def: $sgpr14
	s_and_saveexec_b64 s[4:5], vcc
	s_xor_b64 s[4:5], exec, s[4:5]
	s_cbranch_execz .LBB3_41
; %bb.36:                               ;   in Loop: Header=BB3_3 Depth=1
	v_cmp_ne_u32_e32 vcc, 0, v22
	v_pk_mov_b32 v[20:21], 0, 0
	s_and_saveexec_b64 s[14:15], vcc
	s_cbranch_execz .LBB3_40
; %bb.37:                               ;   in Loop: Header=BB3_3 Depth=1
	s_mov_b64 s[16:17], 0
	v_pk_mov_b32 v[20:21], 0, 0
	s_mov_b64 s[18:19], 0
	s_mov_b64 s[20:21], 0
.LBB3_38:                               ;   Parent Loop BB3_3 Depth=1
                                        ; =>  This Inner Loop Header: Depth=2
	v_mov_b32_e32 v7, s21
	v_add_co_u32_e32 v24, vcc, s20, v10
	v_addc_co_u32_e32 v25, vcc, v11, v7, vcc
	flat_load_ubyte v7, v[24:25]
	s_add_u32 s20, s20, 1
	v_mov_b32_e32 v25, s22
	s_addc_u32 s21, s21, 0
	v_cmp_eq_u32_e32 vcc, s20, v22
	s_waitcnt vmcnt(0) lgkmcnt(0)
	v_and_b32_e32 v24, 0xffff, v7
	v_lshlrev_b64 v[24:25], s18, v[24:25]
	s_add_u32 s18, s18, 8
	s_addc_u32 s19, s19, 0
	v_or_b32_e32 v21, v25, v21
	s_or_b64 s[16:17], vcc, s[16:17]
	v_or_b32_e32 v20, v24, v20
	s_andn2_b64 exec, exec, s[16:17]
	s_cbranch_execnz .LBB3_38
; %bb.39:                               ;   in Loop: Header=BB3_3 Depth=1
	s_or_b64 exec, exec, s[16:17]
.LBB3_40:                               ;   in Loop: Header=BB3_3 Depth=1
	s_or_b64 exec, exec, s[14:15]
	s_mov_b32 s14, 0
                                        ; implicit-def: $vgpr22
.LBB3_41:                               ;   in Loop: Header=BB3_3 Depth=1
	s_or_saveexec_b64 s[4:5], s[4:5]
	v_mov_b32_e32 v7, s14
	s_xor_b64 exec, exec, s[4:5]
	s_cbranch_execz .LBB3_43
; %bb.42:                               ;   in Loop: Header=BB3_3 Depth=1
	flat_load_dwordx2 v[20:21], v[10:11]
	v_add_u32_e32 v7, -8, v22
	v_add_co_u32_e32 v10, vcc, 8, v10
	v_addc_co_u32_e32 v11, vcc, 0, v11, vcc
	s_waitcnt vmcnt(0) lgkmcnt(0)
	v_and_b32_e32 v22, 0xff, v21
	v_and_b32_e32 v23, 0xff00, v21
	;; [unrolled: 1-line block ×4, first 2 shown]
	v_or_b32_e32 v22, v22, v23
	v_or3_b32 v20, v20, 0, 0
	v_or3_b32 v21, v22, v24, v21
.LBB3_43:                               ;   in Loop: Header=BB3_3 Depth=1
	s_or_b64 exec, exec, s[4:5]
	v_cmp_gt_u32_e32 vcc, 8, v7
                                        ; implicit-def: $vgpr22_vgpr23
                                        ; implicit-def: $sgpr14
	s_and_saveexec_b64 s[4:5], vcc
	s_xor_b64 s[4:5], exec, s[4:5]
	s_cbranch_execz .LBB3_49
; %bb.44:                               ;   in Loop: Header=BB3_3 Depth=1
	v_cmp_ne_u32_e32 vcc, 0, v7
	v_pk_mov_b32 v[22:23], 0, 0
	s_and_saveexec_b64 s[14:15], vcc
	s_cbranch_execz .LBB3_48
; %bb.45:                               ;   in Loop: Header=BB3_3 Depth=1
	s_mov_b64 s[16:17], 0
	v_pk_mov_b32 v[22:23], 0, 0
	s_mov_b64 s[18:19], 0
	s_mov_b64 s[20:21], 0
.LBB3_46:                               ;   Parent Loop BB3_3 Depth=1
                                        ; =>  This Inner Loop Header: Depth=2
	v_mov_b32_e32 v25, s21
	v_add_co_u32_e32 v24, vcc, s20, v10
	v_addc_co_u32_e32 v25, vcc, v11, v25, vcc
	flat_load_ubyte v24, v[24:25]
	s_add_u32 s20, s20, 1
	v_mov_b32_e32 v25, s22
	s_addc_u32 s21, s21, 0
	v_cmp_eq_u32_e32 vcc, s20, v7
	s_waitcnt vmcnt(0) lgkmcnt(0)
	v_and_b32_e32 v24, 0xffff, v24
	v_lshlrev_b64 v[24:25], s18, v[24:25]
	s_add_u32 s18, s18, 8
	s_addc_u32 s19, s19, 0
	v_or_b32_e32 v23, v25, v23
	s_or_b64 s[16:17], vcc, s[16:17]
	v_or_b32_e32 v22, v24, v22
	s_andn2_b64 exec, exec, s[16:17]
	s_cbranch_execnz .LBB3_46
; %bb.47:                               ;   in Loop: Header=BB3_3 Depth=1
	s_or_b64 exec, exec, s[16:17]
.LBB3_48:                               ;   in Loop: Header=BB3_3 Depth=1
	s_or_b64 exec, exec, s[14:15]
	s_mov_b32 s14, 0
                                        ; implicit-def: $vgpr7
.LBB3_49:                               ;   in Loop: Header=BB3_3 Depth=1
	s_or_saveexec_b64 s[4:5], s[4:5]
	v_mov_b32_e32 v26, s14
	s_xor_b64 exec, exec, s[4:5]
	s_cbranch_execz .LBB3_51
; %bb.50:                               ;   in Loop: Header=BB3_3 Depth=1
	flat_load_dwordx2 v[22:23], v[10:11]
	v_add_u32_e32 v26, -8, v7
	v_add_co_u32_e32 v10, vcc, 8, v10
	v_addc_co_u32_e32 v11, vcc, 0, v11, vcc
	s_waitcnt vmcnt(0) lgkmcnt(0)
	v_and_b32_e32 v7, 0xff, v23
	v_and_b32_e32 v24, 0xff00, v23
	;; [unrolled: 1-line block ×4, first 2 shown]
	v_or_b32_e32 v7, v7, v24
	v_or3_b32 v22, v22, 0, 0
	v_or3_b32 v23, v7, v25, v23
.LBB3_51:                               ;   in Loop: Header=BB3_3 Depth=1
	s_or_b64 exec, exec, s[4:5]
	v_cmp_gt_u32_e32 vcc, 8, v26
	s_and_saveexec_b64 s[4:5], vcc
	s_xor_b64 s[4:5], exec, s[4:5]
	s_cbranch_execz .LBB3_57
; %bb.52:                               ;   in Loop: Header=BB3_3 Depth=1
	v_cmp_ne_u32_e32 vcc, 0, v26
	v_pk_mov_b32 v[24:25], 0, 0
	s_and_saveexec_b64 s[14:15], vcc
	s_cbranch_execz .LBB3_56
; %bb.53:                               ;   in Loop: Header=BB3_3 Depth=1
	s_mov_b64 s[16:17], 0
	v_pk_mov_b32 v[24:25], 0, 0
	s_mov_b64 s[18:19], 0
.LBB3_54:                               ;   Parent Loop BB3_3 Depth=1
                                        ; =>  This Inner Loop Header: Depth=2
	flat_load_ubyte v7, v[10:11]
	v_mov_b32_e32 v29, s22
	v_add_co_u32_e32 v10, vcc, 1, v10
	v_add_u32_e32 v26, -1, v26
	v_addc_co_u32_e32 v11, vcc, 0, v11, vcc
	v_cmp_eq_u32_e32 vcc, 0, v26
	s_waitcnt vmcnt(0) lgkmcnt(0)
	v_and_b32_e32 v28, 0xffff, v7
	v_lshlrev_b64 v[28:29], s18, v[28:29]
	s_add_u32 s18, s18, 8
	s_addc_u32 s19, s19, 0
	v_or_b32_e32 v25, v29, v25
	s_or_b64 s[16:17], vcc, s[16:17]
	v_or_b32_e32 v24, v28, v24
	s_andn2_b64 exec, exec, s[16:17]
	s_cbranch_execnz .LBB3_54
; %bb.55:                               ;   in Loop: Header=BB3_3 Depth=1
	s_or_b64 exec, exec, s[16:17]
.LBB3_56:                               ;   in Loop: Header=BB3_3 Depth=1
	s_or_b64 exec, exec, s[14:15]
                                        ; implicit-def: $vgpr10_vgpr11
.LBB3_57:                               ;   in Loop: Header=BB3_3 Depth=1
	s_andn2_saveexec_b64 s[4:5], s[4:5]
	s_cbranch_execz .LBB3_59
; %bb.58:                               ;   in Loop: Header=BB3_3 Depth=1
	flat_load_dwordx2 v[10:11], v[10:11]
	s_waitcnt vmcnt(0) lgkmcnt(0)
	v_and_b32_e32 v7, 0xff, v11
	v_and_b32_e32 v24, 0xff00, v11
	;; [unrolled: 1-line block ×4, first 2 shown]
	v_or_b32_e32 v7, v7, v24
	v_or3_b32 v25, v7, v25, v11
	v_or3_b32 v24, v10, 0, 0
.LBB3_59:                               ;   in Loop: Header=BB3_3 Depth=1
	s_or_b64 exec, exec, s[4:5]
	v_readfirstlane_b32 s4, v32
	v_cmp_eq_u32_e64 s[4:5], s4, v32
	v_pk_mov_b32 v[10:11], 0, 0
	s_and_saveexec_b64 s[14:15], s[4:5]
	s_cbranch_execz .LBB3_65
; %bb.60:                               ;   in Loop: Header=BB3_3 Depth=1
	s_waitcnt lgkmcnt(0)
	global_load_dwordx2 v[28:29], v31, s[12:13] offset:24 glc
	s_waitcnt vmcnt(0)
	buffer_invl2
	buffer_wbinvl1_vol
	global_load_dwordx2 v[10:11], v31, s[12:13] offset:40
	global_load_dwordx2 v[26:27], v31, s[12:13]
	s_waitcnt vmcnt(1)
	v_and_b32_e32 v7, v10, v28
	v_and_b32_e32 v10, v11, v29
	v_mul_lo_u32 v10, v10, 24
	v_mul_hi_u32 v11, v7, 24
	v_mul_lo_u32 v7, v7, 24
	v_add_u32_e32 v11, v11, v10
	s_waitcnt vmcnt(0)
	v_add_co_u32_e32 v10, vcc, v26, v7
	v_addc_co_u32_e32 v11, vcc, v27, v11, vcc
	global_load_dwordx2 v[26:27], v[10:11], off glc
	s_waitcnt vmcnt(0)
	global_atomic_cmpswap_x2 v[10:11], v31, v[26:29], s[12:13] offset:24 glc
	s_waitcnt vmcnt(0)
	buffer_invl2
	buffer_wbinvl1_vol
	v_cmp_ne_u64_e32 vcc, v[10:11], v[28:29]
	s_and_saveexec_b64 s[16:17], vcc
	s_cbranch_execz .LBB3_64
; %bb.61:                               ;   in Loop: Header=BB3_3 Depth=1
	s_mov_b64 s[18:19], 0
.LBB3_62:                               ;   Parent Loop BB3_3 Depth=1
                                        ; =>  This Inner Loop Header: Depth=2
	s_sleep 1
	global_load_dwordx2 v[26:27], v31, s[12:13] offset:40
	global_load_dwordx2 v[36:37], v31, s[12:13]
	v_pk_mov_b32 v[28:29], v[10:11], v[10:11] op_sel:[0,1]
	s_waitcnt vmcnt(1)
	v_and_b32_e32 v10, v26, v28
	s_waitcnt vmcnt(0)
	v_mad_u64_u32 v[10:11], s[20:21], v10, 24, v[36:37]
	v_and_b32_e32 v7, v27, v29
	v_mov_b32_e32 v26, v11
	v_mad_u64_u32 v[26:27], s[20:21], v7, 24, v[26:27]
	v_mov_b32_e32 v11, v26
	global_load_dwordx2 v[26:27], v[10:11], off glc
	s_waitcnt vmcnt(0)
	global_atomic_cmpswap_x2 v[10:11], v31, v[26:29], s[12:13] offset:24 glc
	s_waitcnt vmcnt(0)
	buffer_invl2
	buffer_wbinvl1_vol
	v_cmp_eq_u64_e32 vcc, v[10:11], v[28:29]
	s_or_b64 s[18:19], vcc, s[18:19]
	s_andn2_b64 exec, exec, s[18:19]
	s_cbranch_execnz .LBB3_62
; %bb.63:                               ;   in Loop: Header=BB3_3 Depth=1
	s_or_b64 exec, exec, s[18:19]
.LBB3_64:                               ;   in Loop: Header=BB3_3 Depth=1
	s_or_b64 exec, exec, s[16:17]
.LBB3_65:                               ;   in Loop: Header=BB3_3 Depth=1
	s_or_b64 exec, exec, s[14:15]
	s_waitcnt lgkmcnt(0)
	global_load_dwordx2 v[36:37], v31, s[12:13] offset:40
	global_load_dwordx4 v[26:29], v31, s[12:13]
	v_readfirstlane_b32 s14, v10
	v_readfirstlane_b32 s15, v11
	s_mov_b64 s[16:17], exec
	s_waitcnt vmcnt(1)
	v_readfirstlane_b32 s18, v36
	v_readfirstlane_b32 s19, v37
	s_and_b64 s[18:19], s[14:15], s[18:19]
	s_mul_i32 s20, s19, 24
	s_mul_hi_u32 s21, s18, 24
	s_mul_i32 s24, s18, 24
	s_add_i32 s20, s21, s20
	v_mov_b32_e32 v7, s20
	s_waitcnt vmcnt(0)
	v_add_co_u32_e32 v36, vcc, s24, v26
	v_addc_co_u32_e32 v37, vcc, v27, v7, vcc
	s_and_saveexec_b64 s[20:21], s[4:5]
	s_cbranch_execz .LBB3_67
; %bb.66:                               ;   in Loop: Header=BB3_3 Depth=1
	v_pk_mov_b32 v[10:11], s[16:17], s[16:17] op_sel:[0,1]
	global_store_dwordx4 v[36:37], v[10:13], off offset:8
.LBB3_67:                               ;   in Loop: Header=BB3_3 Depth=1
	s_or_b64 exec, exec, s[20:21]
	s_lshl_b64 s[16:17], s[18:19], 12
	v_mov_b32_e32 v7, s17
	v_add_co_u32_e32 v10, vcc, s16, v28
	v_addc_co_u32_e32 v7, vcc, v29, v7, vcc
	v_or_b32_e32 v11, 0, v1
	v_cmp_lt_u64_e32 vcc, 56, v[4:5]
	v_or_b32_e32 v28, v0, v6
	v_cndmask_b32_e32 v1, v11, v1, vcc
	v_lshl_add_u32 v11, v34, 2, 28
	v_cndmask_b32_e32 v0, v28, v0, vcc
	v_and_b32_e32 v11, 0x1e0, v11
	v_and_or_b32 v0, v0, s23, v11
	v_lshlrev_b32_e32 v11, 6, v32
	v_readfirstlane_b32 s16, v10
	v_readfirstlane_b32 s17, v7
	s_nop 4
	global_store_dwordx4 v11, v[0:3], s[16:17]
	global_store_dwordx4 v11, v[14:17], s[16:17] offset:16
	global_store_dwordx4 v11, v[18:21], s[16:17] offset:32
	;; [unrolled: 1-line block ×3, first 2 shown]
	s_and_saveexec_b64 s[16:17], s[4:5]
	s_cbranch_execz .LBB3_75
; %bb.68:                               ;   in Loop: Header=BB3_3 Depth=1
	global_load_dwordx2 v[18:19], v31, s[12:13] offset:32 glc
	global_load_dwordx2 v[0:1], v31, s[12:13] offset:40
	v_mov_b32_e32 v16, s14
	v_mov_b32_e32 v17, s15
	s_waitcnt vmcnt(0)
	v_readfirstlane_b32 s18, v0
	v_readfirstlane_b32 s19, v1
	s_and_b64 s[18:19], s[18:19], s[14:15]
	s_mul_i32 s19, s19, 24
	s_mul_hi_u32 s20, s18, 24
	s_mul_i32 s18, s18, 24
	s_add_i32 s19, s20, s19
	v_mov_b32_e32 v0, s19
	v_add_co_u32_e32 v14, vcc, s18, v26
	v_addc_co_u32_e32 v15, vcc, v27, v0, vcc
	global_store_dwordx2 v[14:15], v[18:19], off
	buffer_wbl2
	s_waitcnt vmcnt(0)
	global_atomic_cmpswap_x2 v[2:3], v31, v[16:19], s[12:13] offset:32 glc
	s_waitcnt vmcnt(0)
	v_cmp_ne_u64_e32 vcc, v[2:3], v[18:19]
	s_and_saveexec_b64 s[18:19], vcc
	s_cbranch_execz .LBB3_71
; %bb.69:                               ;   in Loop: Header=BB3_3 Depth=1
	s_mov_b64 s[20:21], 0
.LBB3_70:                               ;   Parent Loop BB3_3 Depth=1
                                        ; =>  This Inner Loop Header: Depth=2
	s_sleep 1
	global_store_dwordx2 v[14:15], v[2:3], off
	v_mov_b32_e32 v0, s14
	v_mov_b32_e32 v1, s15
	buffer_wbl2
	s_waitcnt vmcnt(0)
	global_atomic_cmpswap_x2 v[0:1], v31, v[0:3], s[12:13] offset:32 glc
	s_waitcnt vmcnt(0)
	v_cmp_eq_u64_e32 vcc, v[0:1], v[2:3]
	s_or_b64 s[20:21], vcc, s[20:21]
	v_pk_mov_b32 v[2:3], v[0:1], v[0:1] op_sel:[0,1]
	s_andn2_b64 exec, exec, s[20:21]
	s_cbranch_execnz .LBB3_70
.LBB3_71:                               ;   in Loop: Header=BB3_3 Depth=1
	s_or_b64 exec, exec, s[18:19]
	global_load_dwordx2 v[0:1], v31, s[12:13] offset:16
	s_mov_b64 s[20:21], exec
	v_mbcnt_lo_u32_b32 v2, s20, 0
	v_mbcnt_hi_u32_b32 v2, s21, v2
	v_cmp_eq_u32_e32 vcc, 0, v2
	s_and_saveexec_b64 s[18:19], vcc
	s_cbranch_execz .LBB3_73
; %bb.72:                               ;   in Loop: Header=BB3_3 Depth=1
	s_bcnt1_i32_b64 s20, s[20:21]
	v_mov_b32_e32 v30, s20
	buffer_wbl2
	s_waitcnt vmcnt(0)
	global_atomic_add_x2 v[0:1], v[30:31], off offset:8
.LBB3_73:                               ;   in Loop: Header=BB3_3 Depth=1
	s_or_b64 exec, exec, s[18:19]
	s_waitcnt vmcnt(0)
	global_load_dwordx2 v[2:3], v[0:1], off offset:16
	s_waitcnt vmcnt(0)
	v_cmp_eq_u64_e32 vcc, 0, v[2:3]
	s_cbranch_vccnz .LBB3_75
; %bb.74:                               ;   in Loop: Header=BB3_3 Depth=1
	global_load_dword v30, v[0:1], off offset:24
	s_waitcnt vmcnt(0)
	v_and_b32_e32 v0, 0xffffff, v30
	v_readfirstlane_b32 m0, v0
	buffer_wbl2
	global_store_dwordx2 v[2:3], v[30:31], off
	s_sendmsg sendmsg(MSG_INTERRUPT)
.LBB3_75:                               ;   in Loop: Header=BB3_3 Depth=1
	s_or_b64 exec, exec, s[16:17]
	v_add_co_u32_e32 v0, vcc, v10, v11
	v_addc_co_u32_e32 v1, vcc, 0, v7, vcc
	s_branch .LBB3_79
.LBB3_76:                               ;   in Loop: Header=BB3_79 Depth=2
	s_or_b64 exec, exec, s[16:17]
	v_readfirstlane_b32 s16, v2
	s_cmp_eq_u32 s16, 0
	s_cbranch_scc1 .LBB3_78
; %bb.77:                               ;   in Loop: Header=BB3_79 Depth=2
	s_sleep 1
	s_cbranch_execnz .LBB3_79
	s_branch .LBB3_81
.LBB3_78:                               ;   in Loop: Header=BB3_3 Depth=1
	s_branch .LBB3_81
.LBB3_79:                               ;   Parent Loop BB3_3 Depth=1
                                        ; =>  This Inner Loop Header: Depth=2
	v_mov_b32_e32 v2, 1
	s_and_saveexec_b64 s[16:17], s[4:5]
	s_cbranch_execz .LBB3_76
; %bb.80:                               ;   in Loop: Header=BB3_79 Depth=2
	global_load_dword v2, v[36:37], off offset:20 glc
	s_waitcnt vmcnt(0)
	buffer_invl2
	buffer_wbinvl1_vol
	v_and_b32_e32 v2, 1, v2
	s_branch .LBB3_76
.LBB3_81:                               ;   in Loop: Header=BB3_3 Depth=1
	global_load_dwordx4 v[0:3], v[0:1], off
	s_and_saveexec_b64 s[16:17], s[4:5]
	s_cbranch_execz .LBB3_2
; %bb.82:                               ;   in Loop: Header=BB3_3 Depth=1
	global_load_dwordx2 v[2:3], v31, s[12:13] offset:40
	global_load_dwordx2 v[10:11], v31, s[12:13] offset:24 glc
	global_load_dwordx2 v[18:19], v31, s[12:13]
	v_mov_b32_e32 v7, s15
	s_waitcnt vmcnt(2)
	v_add_co_u32_e32 v17, vcc, 1, v2
	v_addc_co_u32_e32 v20, vcc, 0, v3, vcc
	v_add_co_u32_e32 v14, vcc, s14, v17
	v_addc_co_u32_e32 v15, vcc, v20, v7, vcc
	v_cmp_eq_u64_e32 vcc, 0, v[14:15]
	v_cndmask_b32_e32 v15, v15, v20, vcc
	v_cndmask_b32_e32 v14, v14, v17, vcc
	v_and_b32_e32 v3, v15, v3
	v_and_b32_e32 v2, v14, v2
	v_mul_lo_u32 v3, v3, 24
	v_mul_hi_u32 v7, v2, 24
	v_mul_lo_u32 v2, v2, 24
	v_add_u32_e32 v3, v7, v3
	s_waitcnt vmcnt(0)
	v_add_co_u32_e32 v2, vcc, v18, v2
	v_addc_co_u32_e32 v3, vcc, v19, v3, vcc
	v_mov_b32_e32 v16, v10
	global_store_dwordx2 v[2:3], v[10:11], off
	v_mov_b32_e32 v17, v11
	buffer_wbl2
	s_waitcnt vmcnt(0)
	global_atomic_cmpswap_x2 v[16:17], v31, v[14:17], s[12:13] offset:24 glc
	s_waitcnt vmcnt(0)
	v_cmp_ne_u64_e32 vcc, v[16:17], v[10:11]
	s_and_b64 exec, exec, vcc
	s_cbranch_execz .LBB3_2
; %bb.83:                               ;   in Loop: Header=BB3_3 Depth=1
	s_mov_b64 s[4:5], 0
.LBB3_84:                               ;   Parent Loop BB3_3 Depth=1
                                        ; =>  This Inner Loop Header: Depth=2
	s_sleep 1
	global_store_dwordx2 v[2:3], v[16:17], off
	buffer_wbl2
	s_waitcnt vmcnt(0)
	global_atomic_cmpswap_x2 v[10:11], v31, v[14:17], s[12:13] offset:24 glc
	s_waitcnt vmcnt(0)
	v_cmp_eq_u64_e32 vcc, v[10:11], v[16:17]
	s_or_b64 s[4:5], vcc, s[4:5]
	v_pk_mov_b32 v[16:17], v[10:11], v[10:11] op_sel:[0,1]
	s_andn2_b64 exec, exec, s[4:5]
	s_cbranch_execnz .LBB3_84
	s_branch .LBB3_2
.LBB3_85:
	s_or_b64 exec, exec, s[6:7]
                                        ; implicit-def: $vgpr0
                                        ; implicit-def: $vgpr1
                                        ; implicit-def: $vgpr2
.LBB3_86:
	s_andn2_saveexec_b64 s[6:7], s[10:11]
	s_cbranch_execz .LBB3_109
; %bb.87:
	s_load_dwordx2 s[8:9], s[8:9], 0x50
	s_waitcnt vmcnt(0)
	v_mbcnt_hi_u32_b32 v3, -1, v2
	v_readfirstlane_b32 s4, v3
	v_cmp_eq_u32_e64 s[4:5], s4, v3
	v_pk_mov_b32 v[8:9], 0, 0
	s_and_saveexec_b64 s[10:11], s[4:5]
	s_cbranch_execz .LBB3_93
; %bb.88:
	v_mov_b32_e32 v2, 0
	s_waitcnt lgkmcnt(0)
	global_load_dwordx2 v[6:7], v2, s[8:9] offset:24 glc
	s_waitcnt vmcnt(0)
	buffer_invl2
	buffer_wbinvl1_vol
	global_load_dwordx2 v[4:5], v2, s[8:9] offset:40
	global_load_dwordx2 v[8:9], v2, s[8:9]
	s_waitcnt vmcnt(1)
	v_and_b32_e32 v4, v4, v6
	v_and_b32_e32 v5, v5, v7
	v_mul_lo_u32 v5, v5, 24
	v_mul_hi_u32 v10, v4, 24
	v_mul_lo_u32 v4, v4, 24
	v_add_u32_e32 v5, v10, v5
	s_waitcnt vmcnt(0)
	v_add_co_u32_e32 v4, vcc, v8, v4
	v_addc_co_u32_e32 v5, vcc, v9, v5, vcc
	global_load_dwordx2 v[4:5], v[4:5], off glc
	s_waitcnt vmcnt(0)
	global_atomic_cmpswap_x2 v[8:9], v2, v[4:7], s[8:9] offset:24 glc
	s_waitcnt vmcnt(0)
	buffer_invl2
	buffer_wbinvl1_vol
	v_cmp_ne_u64_e32 vcc, v[8:9], v[6:7]
	s_and_saveexec_b64 s[12:13], vcc
	s_cbranch_execz .LBB3_92
; %bb.89:
	s_mov_b64 s[14:15], 0
.LBB3_90:                               ; =>This Inner Loop Header: Depth=1
	s_sleep 1
	global_load_dwordx2 v[4:5], v2, s[8:9] offset:40
	global_load_dwordx2 v[10:11], v2, s[8:9]
	v_pk_mov_b32 v[6:7], v[8:9], v[8:9] op_sel:[0,1]
	s_waitcnt vmcnt(1)
	v_and_b32_e32 v4, v4, v6
	v_and_b32_e32 v9, v5, v7
	s_waitcnt vmcnt(0)
	v_mad_u64_u32 v[4:5], s[16:17], v4, 24, v[10:11]
	v_mov_b32_e32 v8, v5
	v_mad_u64_u32 v[8:9], s[16:17], v9, 24, v[8:9]
	v_mov_b32_e32 v5, v8
	global_load_dwordx2 v[4:5], v[4:5], off glc
	s_waitcnt vmcnt(0)
	global_atomic_cmpswap_x2 v[8:9], v2, v[4:7], s[8:9] offset:24 glc
	s_waitcnt vmcnt(0)
	buffer_invl2
	buffer_wbinvl1_vol
	v_cmp_eq_u64_e32 vcc, v[8:9], v[6:7]
	s_or_b64 s[14:15], vcc, s[14:15]
	s_andn2_b64 exec, exec, s[14:15]
	s_cbranch_execnz .LBB3_90
; %bb.91:
	s_or_b64 exec, exec, s[14:15]
.LBB3_92:
	s_or_b64 exec, exec, s[12:13]
.LBB3_93:
	s_or_b64 exec, exec, s[10:11]
	v_mov_b32_e32 v2, 0
	s_waitcnt lgkmcnt(0)
	global_load_dwordx2 v[10:11], v2, s[8:9] offset:40
	global_load_dwordx4 v[4:7], v2, s[8:9]
	v_readfirstlane_b32 s10, v8
	v_readfirstlane_b32 s11, v9
	s_mov_b64 s[12:13], exec
	s_waitcnt vmcnt(1)
	v_readfirstlane_b32 s14, v10
	v_readfirstlane_b32 s15, v11
	s_and_b64 s[14:15], s[10:11], s[14:15]
	s_mul_i32 s16, s15, 24
	s_mul_hi_u32 s17, s14, 24
	s_mul_i32 s18, s14, 24
	s_add_i32 s16, s17, s16
	v_mov_b32_e32 v9, s16
	s_waitcnt vmcnt(0)
	v_add_co_u32_e32 v8, vcc, s18, v4
	v_addc_co_u32_e32 v9, vcc, v5, v9, vcc
	s_and_saveexec_b64 s[16:17], s[4:5]
	s_cbranch_execz .LBB3_95
; %bb.94:
	v_pk_mov_b32 v[10:11], s[12:13], s[12:13] op_sel:[0,1]
	v_mov_b32_e32 v12, 2
	v_mov_b32_e32 v13, 1
	global_store_dwordx4 v[8:9], v[10:13], off offset:8
.LBB3_95:
	s_or_b64 exec, exec, s[16:17]
	s_lshl_b64 s[12:13], s[14:15], 12
	v_mov_b32_e32 v10, s13
	v_add_co_u32_e32 v6, vcc, s12, v6
	s_movk_i32 s12, 0xff1f
	v_addc_co_u32_e32 v7, vcc, v7, v10, vcc
	v_and_or_b32 v0, v0, s12, 32
	s_mov_b32 s12, 0
	v_lshlrev_b32_e32 v10, 6, v3
	v_mov_b32_e32 v3, v2
	v_readfirstlane_b32 s16, v6
	v_readfirstlane_b32 s17, v7
	s_mov_b32 s13, s12
	s_mov_b32 s14, s12
	;; [unrolled: 1-line block ×3, first 2 shown]
	s_nop 1
	global_store_dwordx4 v10, v[0:3], s[16:17]
	s_nop 0
	v_pk_mov_b32 v[0:1], s[12:13], s[12:13] op_sel:[0,1]
	v_pk_mov_b32 v[2:3], s[14:15], s[14:15] op_sel:[0,1]
	global_store_dwordx4 v10, v[0:3], s[16:17] offset:16
	global_store_dwordx4 v10, v[0:3], s[16:17] offset:32
	;; [unrolled: 1-line block ×3, first 2 shown]
	s_and_saveexec_b64 s[12:13], s[4:5]
	s_cbranch_execz .LBB3_103
; %bb.96:
	v_mov_b32_e32 v6, 0
	global_load_dwordx2 v[12:13], v6, s[8:9] offset:32 glc
	global_load_dwordx2 v[0:1], v6, s[8:9] offset:40
	v_mov_b32_e32 v10, s10
	v_mov_b32_e32 v11, s11
	s_waitcnt vmcnt(0)
	v_and_b32_e32 v0, s10, v0
	v_and_b32_e32 v1, s11, v1
	v_mul_lo_u32 v1, v1, 24
	v_mul_hi_u32 v2, v0, 24
	v_mul_lo_u32 v0, v0, 24
	v_add_u32_e32 v1, v2, v1
	v_add_co_u32_e32 v4, vcc, v4, v0
	v_addc_co_u32_e32 v5, vcc, v5, v1, vcc
	global_store_dwordx2 v[4:5], v[12:13], off
	buffer_wbl2
	s_waitcnt vmcnt(0)
	global_atomic_cmpswap_x2 v[2:3], v6, v[10:13], s[8:9] offset:32 glc
	s_waitcnt vmcnt(0)
	v_cmp_ne_u64_e32 vcc, v[2:3], v[12:13]
	s_and_saveexec_b64 s[14:15], vcc
	s_cbranch_execz .LBB3_99
; %bb.97:
	s_mov_b64 s[16:17], 0
.LBB3_98:                               ; =>This Inner Loop Header: Depth=1
	s_sleep 1
	global_store_dwordx2 v[4:5], v[2:3], off
	v_mov_b32_e32 v0, s10
	v_mov_b32_e32 v1, s11
	buffer_wbl2
	s_waitcnt vmcnt(0)
	global_atomic_cmpswap_x2 v[0:1], v6, v[0:3], s[8:9] offset:32 glc
	s_waitcnt vmcnt(0)
	v_cmp_eq_u64_e32 vcc, v[0:1], v[2:3]
	s_or_b64 s[16:17], vcc, s[16:17]
	v_pk_mov_b32 v[2:3], v[0:1], v[0:1] op_sel:[0,1]
	s_andn2_b64 exec, exec, s[16:17]
	s_cbranch_execnz .LBB3_98
.LBB3_99:
	s_or_b64 exec, exec, s[14:15]
	v_mov_b32_e32 v3, 0
	global_load_dwordx2 v[0:1], v3, s[8:9] offset:16
	s_mov_b64 s[14:15], exec
	v_mbcnt_lo_u32_b32 v2, s14, 0
	v_mbcnt_hi_u32_b32 v2, s15, v2
	v_cmp_eq_u32_e32 vcc, 0, v2
	s_and_saveexec_b64 s[16:17], vcc
	s_cbranch_execz .LBB3_101
; %bb.100:
	s_bcnt1_i32_b64 s14, s[14:15]
	v_mov_b32_e32 v2, s14
	buffer_wbl2
	s_waitcnt vmcnt(0)
	global_atomic_add_x2 v[0:1], v[2:3], off offset:8
.LBB3_101:
	s_or_b64 exec, exec, s[16:17]
	s_waitcnt vmcnt(0)
	global_load_dwordx2 v[2:3], v[0:1], off offset:16
	s_waitcnt vmcnt(0)
	v_cmp_eq_u64_e32 vcc, 0, v[2:3]
	s_cbranch_vccnz .LBB3_103
; %bb.102:
	global_load_dword v0, v[0:1], off offset:24
	v_mov_b32_e32 v1, 0
	buffer_wbl2
	s_waitcnt vmcnt(0)
	global_store_dwordx2 v[2:3], v[0:1], off
	v_and_b32_e32 v0, 0xffffff, v0
	v_readfirstlane_b32 m0, v0
	s_sendmsg sendmsg(MSG_INTERRUPT)
.LBB3_103:
	s_or_b64 exec, exec, s[12:13]
	s_branch .LBB3_107
.LBB3_104:                              ;   in Loop: Header=BB3_107 Depth=1
	s_or_b64 exec, exec, s[12:13]
	v_readfirstlane_b32 s12, v0
	s_cmp_eq_u32 s12, 0
	s_cbranch_scc1 .LBB3_106
; %bb.105:                              ;   in Loop: Header=BB3_107 Depth=1
	s_sleep 1
	s_cbranch_execnz .LBB3_107
	s_branch .LBB3_110
.LBB3_106:
	s_branch .LBB3_110
.LBB3_107:                              ; =>This Inner Loop Header: Depth=1
	v_mov_b32_e32 v0, 1
	s_and_saveexec_b64 s[12:13], s[4:5]
	s_cbranch_execz .LBB3_104
; %bb.108:                              ;   in Loop: Header=BB3_107 Depth=1
	global_load_dword v0, v[8:9], off offset:20 glc
	s_waitcnt vmcnt(0)
	buffer_invl2
	buffer_wbinvl1_vol
	v_and_b32_e32 v0, 1, v0
	s_branch .LBB3_104
.LBB3_109:
	s_or_b64 exec, exec, s[6:7]
	s_waitcnt vmcnt(0) lgkmcnt(0)
	s_setpc_b64 s[30:31]
.LBB3_110:
	s_and_saveexec_b64 s[12:13], s[4:5]
	s_cbranch_execz .LBB3_113
; %bb.111:
	v_mov_b32_e32 v6, 0
	global_load_dwordx2 v[4:5], v6, s[8:9] offset:40
	global_load_dwordx2 v[8:9], v6, s[8:9] offset:24 glc
	global_load_dwordx2 v[10:11], v6, s[8:9]
	v_mov_b32_e32 v1, s11
	s_mov_b64 s[4:5], 0
	s_waitcnt vmcnt(2)
	v_add_co_u32_e32 v3, vcc, 1, v4
	v_addc_co_u32_e32 v7, vcc, 0, v5, vcc
	v_add_co_u32_e32 v0, vcc, s10, v3
	v_addc_co_u32_e32 v1, vcc, v7, v1, vcc
	v_cmp_eq_u64_e32 vcc, 0, v[0:1]
	v_cndmask_b32_e32 v1, v1, v7, vcc
	v_cndmask_b32_e32 v0, v0, v3, vcc
	v_and_b32_e32 v3, v1, v5
	v_and_b32_e32 v4, v0, v4
	v_mul_lo_u32 v3, v3, 24
	v_mul_hi_u32 v5, v4, 24
	v_mul_lo_u32 v4, v4, 24
	v_add_u32_e32 v3, v5, v3
	s_waitcnt vmcnt(0)
	v_add_co_u32_e32 v4, vcc, v10, v4
	v_addc_co_u32_e32 v5, vcc, v11, v3, vcc
	v_mov_b32_e32 v2, v8
	global_store_dwordx2 v[4:5], v[8:9], off
	v_mov_b32_e32 v3, v9
	buffer_wbl2
	s_waitcnt vmcnt(0)
	global_atomic_cmpswap_x2 v[2:3], v6, v[0:3], s[8:9] offset:24 glc
	s_waitcnt vmcnt(0)
	v_cmp_ne_u64_e32 vcc, v[2:3], v[8:9]
	s_and_b64 exec, exec, vcc
	s_cbranch_execz .LBB3_113
.LBB3_112:                              ; =>This Inner Loop Header: Depth=1
	s_sleep 1
	global_store_dwordx2 v[4:5], v[2:3], off
	buffer_wbl2
	s_waitcnt vmcnt(0)
	global_atomic_cmpswap_x2 v[8:9], v6, v[0:3], s[8:9] offset:24 glc
	s_waitcnt vmcnt(0)
	v_cmp_eq_u64_e32 vcc, v[8:9], v[2:3]
	s_or_b64 s[4:5], vcc, s[4:5]
	v_pk_mov_b32 v[2:3], v[8:9], v[8:9] op_sel:[0,1]
	s_andn2_b64 exec, exec, s[4:5]
	s_cbranch_execnz .LBB3_112
.LBB3_113:
	s_or_b64 exec, exec, s[12:13]
	s_or_b64 exec, exec, s[6:7]
	s_waitcnt vmcnt(0) lgkmcnt(0)
	s_setpc_b64 s[30:31]
.Lfunc_end3:
	.size	__ockl_fprintf_append_string_n, .Lfunc_end3-__ockl_fprintf_append_string_n
                                        ; -- End function
	.section	.AMDGPU.csdata,"",@progbits
; Function info:
; codeLenInByte = 4372
; NumSgprs: 36
; NumVgprs: 38
; NumAgprs: 0
; TotalNumVgprs: 38
; ScratchSize: 0
; MemoryBound: 0
	.text
	.p2align	2                               ; -- Begin function __assert_fail
	.type	__assert_fail,@function
__assert_fail:                          ; @__assert_fail
; %bb.0:
	s_waitcnt vmcnt(0) expcnt(0) lgkmcnt(0)
	s_mov_b32 s25, s33
	s_mov_b32 s33, s32
	s_or_saveexec_b64 s[4:5], -1
	buffer_store_dword v40, off, s[0:3], s33 offset:48 ; 4-byte Folded Spill
	s_mov_b64 exec, s[4:5]
	v_writelane_b32 v40, s30, 0
	s_addk_i32 s32, 0x1000
	v_writelane_b32 v40, s31, 1
	s_getpc_b64 s[4:5]
	s_add_u32 s4, s4, __const.__assert_fail.fmt@rel32@lo+4
	s_addc_u32 s5, s5, __const.__assert_fail.fmt@rel32@hi+12
	s_load_dwordx4 s[4:7], s[4:5], 0x0
	v_mov_b32_e32 v6, v0
	v_mov_b32_e32 v0, 0xa2e
	buffer_store_short v0, off, s[0:3], s33 offset:44
	v_mov_b32_e32 v0, 0x64656c69
	buffer_store_dword v0, off, s[0:3], s33 offset:40
	v_mov_b32_e32 v0, 0x61662027
	s_getpc_b64 s[10:11]
	s_add_u32 s10, s10, __const.__assert_fail.fmt@rel32@lo+20
	s_addc_u32 s11, s11, __const.__assert_fail.fmt@rel32@hi+28
	buffer_store_dword v0, off, s[0:3], s33 offset:36
	v_mov_b32_e32 v0, 0x73256020
	s_load_dwordx4 s[12:15], s[10:11], 0x0
	buffer_store_dword v0, off, s[0:3], s33 offset:32
	s_waitcnt lgkmcnt(0)
	v_mov_b32_e32 v0, s7
	buffer_store_dword v0, off, s[0:3], s33 offset:12
	v_mov_b32_e32 v0, s6
	buffer_store_dword v0, off, s[0:3], s33 offset:8
	;; [unrolled: 2-line block ×3, first 2 shown]
	v_mov_b32_e32 v0, s4
	buffer_store_dword v0, off, s[0:3], s33
	v_mov_b32_e32 v0, s15
	buffer_store_dword v0, off, s[0:3], s33 offset:28
	v_mov_b32_e32 v0, s14
	buffer_store_dword v0, off, s[0:3], s33 offset:24
	;; [unrolled: 2-line block ×3, first 2 shown]
	v_mov_b32_e32 v0, s12
	s_load_dwordx2 s[10:11], s[8:9], 0x50
	buffer_store_dword v0, off, s[0:3], s33 offset:16
	v_mbcnt_lo_u32_b32 v0, -1, 0
	v_mbcnt_hi_u32_b32 v49, -1, v0
	v_readfirstlane_b32 s4, v49
	v_mov_b32_e32 v37, v4
	v_mov_b32_e32 v36, v3
	;; [unrolled: 1-line block ×4, first 2 shown]
	v_cmp_eq_u32_e64 s[4:5], s4, v49
	v_pk_mov_b32 v[0:1], 0, 0
	buffer_store_byte v3, off, s[0:3], s33 offset:46
	s_and_saveexec_b64 s[6:7], s[4:5]
	s_cbranch_execz .LBB4_6
; %bb.1:
	s_waitcnt lgkmcnt(0)
	global_load_dwordx2 v[10:11], v3, s[10:11] offset:24 glc
	s_waitcnt vmcnt(0)
	buffer_invl2
	buffer_wbinvl1_vol
	global_load_dwordx2 v[0:1], v3, s[10:11] offset:40
	global_load_dwordx2 v[4:5], v3, s[10:11]
	s_waitcnt vmcnt(1)
	v_and_b32_e32 v0, v0, v10
	v_and_b32_e32 v1, v1, v11
	v_mul_lo_u32 v1, v1, 24
	v_mul_hi_u32 v8, v0, 24
	v_mul_lo_u32 v0, v0, 24
	v_add_u32_e32 v1, v8, v1
	s_waitcnt vmcnt(0)
	v_add_co_u32_e32 v0, vcc, v4, v0
	v_addc_co_u32_e32 v1, vcc, v5, v1, vcc
	global_load_dwordx2 v[8:9], v[0:1], off glc
	s_waitcnt vmcnt(0)
	global_atomic_cmpswap_x2 v[0:1], v3, v[8:11], s[10:11] offset:24 glc
	s_waitcnt vmcnt(0)
	buffer_invl2
	buffer_wbinvl1_vol
	v_cmp_ne_u64_e32 vcc, v[0:1], v[10:11]
	s_and_saveexec_b64 s[12:13], vcc
	s_cbranch_execz .LBB4_5
; %bb.2:
	s_mov_b64 s[14:15], 0
.LBB4_3:                                ; =>This Inner Loop Header: Depth=1
	s_sleep 1
	global_load_dwordx2 v[4:5], v3, s[10:11] offset:40
	global_load_dwordx2 v[8:9], v3, s[10:11]
	v_pk_mov_b32 v[10:11], v[0:1], v[0:1] op_sel:[0,1]
	s_waitcnt vmcnt(1)
	v_and_b32_e32 v0, v4, v10
	s_waitcnt vmcnt(0)
	v_mad_u64_u32 v[0:1], s[16:17], v0, 24, v[8:9]
	v_and_b32_e32 v5, v5, v11
	v_mov_b32_e32 v4, v1
	v_mad_u64_u32 v[4:5], s[16:17], v5, 24, v[4:5]
	v_mov_b32_e32 v1, v4
	global_load_dwordx2 v[8:9], v[0:1], off glc
	s_waitcnt vmcnt(0)
	global_atomic_cmpswap_x2 v[0:1], v3, v[8:11], s[10:11] offset:24 glc
	s_waitcnt vmcnt(0)
	buffer_invl2
	buffer_wbinvl1_vol
	v_cmp_eq_u64_e32 vcc, v[0:1], v[10:11]
	s_or_b64 s[14:15], vcc, s[14:15]
	s_andn2_b64 exec, exec, s[14:15]
	s_cbranch_execnz .LBB4_3
; %bb.4:
	s_or_b64 exec, exec, s[14:15]
.LBB4_5:
	s_or_b64 exec, exec, s[12:13]
.LBB4_6:
	s_or_b64 exec, exec, s[6:7]
	s_waitcnt lgkmcnt(0)
	global_load_dwordx2 v[4:5], v3, s[10:11] offset:40
	global_load_dwordx4 v[8:11], v3, s[10:11]
	v_readfirstlane_b32 s6, v0
	v_readfirstlane_b32 s7, v1
	s_mov_b64 s[12:13], exec
	s_waitcnt vmcnt(1)
	v_readfirstlane_b32 s14, v4
	v_readfirstlane_b32 s15, v5
	s_and_b64 s[14:15], s[6:7], s[14:15]
	s_mul_i32 s16, s15, 24
	s_mul_hi_u32 s17, s14, 24
	s_mul_i32 s18, s14, 24
	s_add_i32 s16, s17, s16
	v_mov_b32_e32 v1, s16
	s_waitcnt vmcnt(0)
	v_add_co_u32_e32 v0, vcc, s18, v8
	v_addc_co_u32_e32 v1, vcc, v9, v1, vcc
	s_and_saveexec_b64 s[16:17], s[4:5]
	s_cbranch_execz .LBB4_8
; %bb.7:
	v_pk_mov_b32 v[12:13], s[12:13], s[12:13] op_sel:[0,1]
	v_mov_b32_e32 v14, 2
	v_mov_b32_e32 v15, 1
	global_store_dwordx4 v[0:1], v[12:15], off offset:8
.LBB4_8:
	s_or_b64 exec, exec, s[16:17]
	s_lshl_b64 s[12:13], s[14:15], 12
	v_mov_b32_e32 v3, s13
	v_add_co_u32_e32 v14, vcc, s12, v10
	v_addc_co_u32_e32 v3, vcc, v11, v3, vcc
	s_mov_b32 s12, 0
	v_mov_b32_e32 v11, 0
	v_lshlrev_b32_e32 v48, 6, v49
	v_mov_b32_e32 v10, 33
	v_mov_b32_e32 v12, 1
	v_mov_b32_e32 v13, v11
	v_readfirstlane_b32 s16, v14
	v_readfirstlane_b32 s17, v3
	s_mov_b32 s13, s12
	v_add_co_u32_e32 v4, vcc, v14, v48
	s_mov_b32 s14, s12
	s_mov_b32 s15, s12
	s_nop 0
	global_store_dwordx4 v48, v[10:13], s[16:17]
	v_addc_co_u32_e32 v5, vcc, 0, v3, vcc
	v_pk_mov_b32 v[12:13], s[12:13], s[12:13] op_sel:[0,1]
	v_pk_mov_b32 v[14:15], s[14:15], s[14:15] op_sel:[0,1]
	global_store_dwordx4 v48, v[12:15], s[16:17] offset:16
	global_store_dwordx4 v48, v[12:15], s[16:17] offset:32
	;; [unrolled: 1-line block ×3, first 2 shown]
	s_and_saveexec_b64 s[12:13], s[4:5]
	s_cbranch_execz .LBB4_16
; %bb.9:
	global_load_dwordx2 v[16:17], v11, s[10:11] offset:32 glc
	global_load_dwordx2 v[12:13], v11, s[10:11] offset:40
	v_mov_b32_e32 v14, s6
	v_mov_b32_e32 v15, s7
	s_waitcnt vmcnt(0)
	v_and_b32_e32 v3, s6, v12
	v_and_b32_e32 v10, s7, v13
	v_mul_lo_u32 v10, v10, 24
	v_mul_hi_u32 v12, v3, 24
	v_mul_lo_u32 v3, v3, 24
	v_add_u32_e32 v10, v12, v10
	v_add_co_u32_e32 v8, vcc, v8, v3
	v_addc_co_u32_e32 v9, vcc, v9, v10, vcc
	global_store_dwordx2 v[8:9], v[16:17], off
	buffer_wbl2
	s_waitcnt vmcnt(0)
	global_atomic_cmpswap_x2 v[14:15], v11, v[14:17], s[10:11] offset:32 glc
	s_waitcnt vmcnt(0)
	v_cmp_ne_u64_e32 vcc, v[14:15], v[16:17]
	s_and_saveexec_b64 s[14:15], vcc
	s_cbranch_execz .LBB4_12
; %bb.10:
	s_mov_b64 s[16:17], 0
.LBB4_11:                               ; =>This Inner Loop Header: Depth=1
	s_sleep 1
	global_store_dwordx2 v[8:9], v[14:15], off
	v_mov_b32_e32 v12, s6
	v_mov_b32_e32 v13, s7
	buffer_wbl2
	s_waitcnt vmcnt(0)
	global_atomic_cmpswap_x2 v[12:13], v11, v[12:15], s[10:11] offset:32 glc
	s_waitcnt vmcnt(0)
	v_cmp_eq_u64_e32 vcc, v[12:13], v[14:15]
	s_or_b64 s[16:17], vcc, s[16:17]
	v_pk_mov_b32 v[14:15], v[12:13], v[12:13] op_sel:[0,1]
	s_andn2_b64 exec, exec, s[16:17]
	s_cbranch_execnz .LBB4_11
.LBB4_12:
	s_or_b64 exec, exec, s[14:15]
	v_mov_b32_e32 v11, 0
	global_load_dwordx2 v[8:9], v11, s[10:11] offset:16
	s_mov_b64 s[14:15], exec
	v_mbcnt_lo_u32_b32 v3, s14, 0
	v_mbcnt_hi_u32_b32 v3, s15, v3
	v_cmp_eq_u32_e32 vcc, 0, v3
	s_and_saveexec_b64 s[16:17], vcc
	s_cbranch_execz .LBB4_14
; %bb.13:
	s_bcnt1_i32_b64 s14, s[14:15]
	v_mov_b32_e32 v10, s14
	buffer_wbl2
	s_waitcnt vmcnt(0)
	global_atomic_add_x2 v[8:9], v[10:11], off offset:8
.LBB4_14:
	s_or_b64 exec, exec, s[16:17]
	s_waitcnt vmcnt(0)
	global_load_dwordx2 v[10:11], v[8:9], off offset:16
	s_waitcnt vmcnt(0)
	v_cmp_eq_u64_e32 vcc, 0, v[10:11]
	s_cbranch_vccnz .LBB4_16
; %bb.15:
	global_load_dword v8, v[8:9], off offset:24
	v_mov_b32_e32 v9, 0
	s_waitcnt vmcnt(0)
	v_and_b32_e32 v3, 0xffffff, v8
	v_readfirstlane_b32 m0, v3
	buffer_wbl2
	global_store_dwordx2 v[10:11], v[8:9], off
	s_sendmsg sendmsg(MSG_INTERRUPT)
.LBB4_16:
	s_or_b64 exec, exec, s[12:13]
	s_branch .LBB4_20
.LBB4_17:                               ;   in Loop: Header=BB4_20 Depth=1
	s_or_b64 exec, exec, s[12:13]
	v_readfirstlane_b32 s12, v3
	s_cmp_eq_u32 s12, 0
	s_cbranch_scc1 .LBB4_19
; %bb.18:                               ;   in Loop: Header=BB4_20 Depth=1
	s_sleep 1
	s_cbranch_execnz .LBB4_20
	s_branch .LBB4_22
.LBB4_19:
	s_branch .LBB4_22
.LBB4_20:                               ; =>This Inner Loop Header: Depth=1
	v_mov_b32_e32 v3, 1
	s_and_saveexec_b64 s[12:13], s[4:5]
	s_cbranch_execz .LBB4_17
; %bb.21:                               ;   in Loop: Header=BB4_20 Depth=1
	global_load_dword v3, v[0:1], off offset:20 glc
	s_waitcnt vmcnt(0)
	buffer_invl2
	buffer_wbinvl1_vol
	v_and_b32_e32 v3, 1, v3
	s_branch .LBB4_17
.LBB4_22:
	global_load_dwordx2 v[12:13], v[4:5], off
	s_and_saveexec_b64 s[12:13], s[4:5]
	s_cbranch_execz .LBB4_25
; %bb.23:
	v_mov_b32_e32 v3, 0
	global_load_dwordx2 v[0:1], v3, s[10:11] offset:40
	global_load_dwordx2 v[4:5], v3, s[10:11] offset:24 glc
	global_load_dwordx2 v[14:15], v3, s[10:11]
	v_mov_b32_e32 v9, s7
	s_mov_b64 s[4:5], 0
	s_waitcnt vmcnt(2)
	v_add_co_u32_e32 v11, vcc, 1, v0
	v_addc_co_u32_e32 v16, vcc, 0, v1, vcc
	v_add_co_u32_e32 v8, vcc, s6, v11
	v_addc_co_u32_e32 v9, vcc, v16, v9, vcc
	v_cmp_eq_u64_e32 vcc, 0, v[8:9]
	v_cndmask_b32_e32 v9, v9, v16, vcc
	v_cndmask_b32_e32 v8, v8, v11, vcc
	v_and_b32_e32 v1, v9, v1
	v_and_b32_e32 v0, v8, v0
	v_mul_lo_u32 v1, v1, 24
	v_mul_hi_u32 v11, v0, 24
	v_mul_lo_u32 v0, v0, 24
	v_add_u32_e32 v1, v11, v1
	s_waitcnt vmcnt(0)
	v_add_co_u32_e32 v0, vcc, v14, v0
	v_addc_co_u32_e32 v1, vcc, v15, v1, vcc
	v_mov_b32_e32 v10, v4
	global_store_dwordx2 v[0:1], v[4:5], off
	v_mov_b32_e32 v11, v5
	buffer_wbl2
	s_waitcnt vmcnt(0)
	global_atomic_cmpswap_x2 v[10:11], v3, v[8:11], s[10:11] offset:24 glc
	s_waitcnt vmcnt(0)
	v_cmp_ne_u64_e32 vcc, v[10:11], v[4:5]
	s_and_b64 exec, exec, vcc
	s_cbranch_execz .LBB4_25
.LBB4_24:                               ; =>This Inner Loop Header: Depth=1
	s_sleep 1
	global_store_dwordx2 v[0:1], v[10:11], off
	buffer_wbl2
	s_waitcnt vmcnt(0)
	global_atomic_cmpswap_x2 v[4:5], v3, v[8:11], s[10:11] offset:24 glc
	s_waitcnt vmcnt(0)
	v_cmp_eq_u64_e32 vcc, v[4:5], v[10:11]
	s_or_b64 s[4:5], vcc, s[4:5]
	v_pk_mov_b32 v[10:11], v[4:5], v[4:5] op_sel:[0,1]
	s_andn2_b64 exec, exec, s[4:5]
	s_cbranch_execnz .LBB4_24
.LBB4_25:
	s_or_b64 exec, exec, s[12:13]
	v_lshrrev_b32_e64 v1, 6, s33
	s_mov_b64 s[4:5], 0
.LBB4_26:                               ; =>This Inner Loop Header: Depth=1
	buffer_load_ubyte v3, v1, s[0:3], 0 offen
	v_add_u32_e32 v0, 1, v1
	v_mov_b32_e32 v1, v0
	s_waitcnt vmcnt(0)
	v_cmp_eq_u16_e32 vcc, 0, v3
	s_or_b64 s[4:5], vcc, s[4:5]
	s_andn2_b64 exec, exec, s[4:5]
	s_cbranch_execnz .LBB4_26
; %bb.27:
	s_or_b64 exec, exec, s[4:5]
	v_lshrrev_b32_e64 v5, 6, s33
	v_cmp_ne_u32_e32 vcc, -1, v5
	s_cbranch_vccz .LBB4_112
; %bb.28:
	v_lshrrev_b32_e64 v1, 6, s33
	v_subrev_u32_e32 v0, v1, v0
	v_ashrrev_i32_e32 v1, 31, v0
	v_and_b32_e32 v4, 2, v12
	v_mov_b32_e32 v35, 0
	v_and_b32_e32 v8, -3, v12
	v_mov_b32_e32 v9, v13
	s_mov_b64 s[12:13], 0
	s_mov_b32 s20, 0
	s_movk_i32 s21, 0xff1f
	v_mov_b32_e32 v16, 2
	v_mov_b32_e32 v17, 1
	s_branch .LBB4_30
.LBB4_29:                               ;   in Loop: Header=BB4_30 Depth=1
	s_or_b64 exec, exec, s[6:7]
	v_sub_co_u32_e32 v0, vcc, v0, v50
	v_subb_co_u32_e32 v1, vcc, v1, v15, vcc
	v_cmp_eq_u64_e32 vcc, 0, v[0:1]
	s_or_b64 s[12:13], vcc, s[12:13]
	v_add_u32_e32 v5, v5, v50
	s_andn2_b64 exec, exec, s[12:13]
	s_cbranch_execz .LBB4_113
.LBB4_30:                               ; =>This Loop Header: Depth=1
                                        ;     Child Loop BB4_33 Depth 2
                                        ;     Child Loop BB4_41 Depth 2
	;; [unrolled: 1-line block ×11, first 2 shown]
	v_cmp_gt_u64_e32 vcc, 56, v[0:1]
	v_cndmask_b32_e32 v50, 56, v0, vcc
	v_cmp_gt_u64_e64 s[4:5], 8, v[0:1]
                                        ; implicit-def: $vgpr10_vgpr11
                                        ; implicit-def: $sgpr14
	s_and_saveexec_b64 s[6:7], s[4:5]
	s_xor_b64 s[6:7], exec, s[6:7]
	s_cbranch_execz .LBB4_36
; %bb.31:                               ;   in Loop: Header=BB4_30 Depth=1
	s_mov_b64 s[16:17], 0
	v_cmp_ne_u64_e64 s[4:5], 0, v[0:1]
	s_waitcnt vmcnt(0)
	v_pk_mov_b32 v[10:11], 0, 0
	s_and_saveexec_b64 s[14:15], s[4:5]
	s_cbranch_execz .LBB4_35
; %bb.32:                               ;   in Loop: Header=BB4_30 Depth=1
	s_mov_b32 s22, 0
	v_pk_mov_b32 v[10:11], 0, 0
	s_mov_b64 s[18:19], 0
.LBB4_33:                               ;   Parent Loop BB4_30 Depth=1
                                        ; =>  This Inner Loop Header: Depth=2
	v_add_u32_e32 v3, s22, v5
	buffer_load_ubyte v3, v3, s[0:3], 0 offen
	v_mov_b32_e32 v15, s20
	s_add_i32 s22, s22, 1
	v_cmp_eq_u32_e64 s[4:5], s22, v50
	s_waitcnt vmcnt(0)
	v_and_b32_e32 v14, 0xffff, v3
	v_lshlrev_b64 v[14:15], s18, v[14:15]
	s_add_u32 s18, s18, 8
	s_addc_u32 s19, s19, 0
	v_or_b32_e32 v11, v15, v11
	s_or_b64 s[16:17], s[4:5], s[16:17]
	v_or_b32_e32 v10, v14, v10
	s_andn2_b64 exec, exec, s[16:17]
	s_cbranch_execnz .LBB4_33
; %bb.34:                               ;   in Loop: Header=BB4_30 Depth=1
	s_or_b64 exec, exec, s[16:17]
.LBB4_35:                               ;   in Loop: Header=BB4_30 Depth=1
	s_or_b64 exec, exec, s[14:15]
	s_mov_b32 s14, 0
.LBB4_36:                               ;   in Loop: Header=BB4_30 Depth=1
	s_or_saveexec_b64 s[4:5], s[6:7]
	v_mov_b32_e32 v14, s14
	v_mov_b32_e32 v3, v5
	s_xor_b64 exec, exec, s[4:5]
	s_cbranch_execz .LBB4_38
; %bb.37:                               ;   in Loop: Header=BB4_30 Depth=1
	buffer_load_dword v3, v5, s[0:3], 0 offen offset:4
	buffer_load_dword v10, v5, s[0:3], 0 offen
	v_add_u32_e32 v14, -8, v50
	s_waitcnt vmcnt(1)
	v_and_b32_e32 v11, 0xff, v3
	v_and_b32_e32 v15, 0xff00, v3
	s_waitcnt vmcnt(0)
	v_or3_b32 v10, v10, 0, 0
	v_and_b32_e32 v18, 0xff0000, v3
	v_and_b32_e32 v3, 0xff000000, v3
	v_or3_b32 v11, 0, v11, v15
	v_or3_b32 v10, v10, 0, 0
	;; [unrolled: 1-line block ×3, first 2 shown]
	v_add_u32_e32 v3, 8, v5
.LBB4_38:                               ;   in Loop: Header=BB4_30 Depth=1
	s_or_b64 exec, exec, s[4:5]
	v_cmp_gt_u32_e64 s[4:5], 8, v14
                                        ; implicit-def: $vgpr18_vgpr19
                                        ; implicit-def: $sgpr14
	s_and_saveexec_b64 s[6:7], s[4:5]
	s_xor_b64 s[6:7], exec, s[6:7]
	s_cbranch_execz .LBB4_44
; %bb.39:                               ;   in Loop: Header=BB4_30 Depth=1
	v_cmp_ne_u32_e64 s[4:5], 0, v14
	v_pk_mov_b32 v[18:19], 0, 0
	s_and_saveexec_b64 s[14:15], s[4:5]
	s_cbranch_execz .LBB4_43
; %bb.40:                               ;   in Loop: Header=BB4_30 Depth=1
	s_mov_b32 s22, 0
	s_mov_b64 s[16:17], 0
	v_pk_mov_b32 v[18:19], 0, 0
	s_mov_b64 s[18:19], 0
.LBB4_41:                               ;   Parent Loop BB4_30 Depth=1
                                        ; =>  This Inner Loop Header: Depth=2
	v_add_u32_e32 v15, s22, v3
	buffer_load_ubyte v15, v15, s[0:3], 0 offen
	v_mov_b32_e32 v21, s20
	s_add_i32 s22, s22, 1
	v_cmp_eq_u32_e64 s[4:5], s22, v14
	s_waitcnt vmcnt(0)
	v_and_b32_e32 v20, 0xffff, v15
	v_lshlrev_b64 v[20:21], s18, v[20:21]
	s_add_u32 s18, s18, 8
	s_addc_u32 s19, s19, 0
	v_or_b32_e32 v19, v21, v19
	s_or_b64 s[16:17], s[4:5], s[16:17]
	v_or_b32_e32 v18, v20, v18
	s_andn2_b64 exec, exec, s[16:17]
	s_cbranch_execnz .LBB4_41
; %bb.42:                               ;   in Loop: Header=BB4_30 Depth=1
	s_or_b64 exec, exec, s[16:17]
.LBB4_43:                               ;   in Loop: Header=BB4_30 Depth=1
	s_or_b64 exec, exec, s[14:15]
	s_mov_b32 s14, 0
                                        ; implicit-def: $vgpr14
.LBB4_44:                               ;   in Loop: Header=BB4_30 Depth=1
	s_or_saveexec_b64 s[4:5], s[6:7]
	v_mov_b32_e32 v15, s14
	s_xor_b64 exec, exec, s[4:5]
	s_cbranch_execz .LBB4_46
; %bb.45:                               ;   in Loop: Header=BB4_30 Depth=1
	buffer_load_dword v18, v3, s[0:3], 0 offen offset:4
	buffer_load_dword v19, v3, s[0:3], 0 offen
	v_add_u32_e32 v15, -8, v14
	v_add_u32_e32 v3, 8, v3
	s_waitcnt vmcnt(1)
	v_and_b32_e32 v14, 0xff, v18
	v_and_b32_e32 v20, 0xff00, v18
	s_waitcnt vmcnt(0)
	v_or3_b32 v19, v19, 0, 0
	v_and_b32_e32 v21, 0xff0000, v18
	v_and_b32_e32 v22, 0xff000000, v18
	v_or3_b32 v14, 0, v14, v20
	v_or3_b32 v18, v19, 0, 0
	;; [unrolled: 1-line block ×3, first 2 shown]
.LBB4_46:                               ;   in Loop: Header=BB4_30 Depth=1
	s_or_b64 exec, exec, s[4:5]
	v_cmp_gt_u32_e64 s[4:5], 8, v15
                                        ; implicit-def: $sgpr14
	s_and_saveexec_b64 s[6:7], s[4:5]
	s_xor_b64 s[6:7], exec, s[6:7]
	s_cbranch_execz .LBB4_52
; %bb.47:                               ;   in Loop: Header=BB4_30 Depth=1
	v_cmp_ne_u32_e64 s[4:5], 0, v15
	v_pk_mov_b32 v[20:21], 0, 0
	s_and_saveexec_b64 s[14:15], s[4:5]
	s_cbranch_execz .LBB4_51
; %bb.48:                               ;   in Loop: Header=BB4_30 Depth=1
	s_mov_b32 s22, 0
	s_mov_b64 s[16:17], 0
	v_pk_mov_b32 v[20:21], 0, 0
	s_mov_b64 s[18:19], 0
.LBB4_49:                               ;   Parent Loop BB4_30 Depth=1
                                        ; =>  This Inner Loop Header: Depth=2
	v_add_u32_e32 v14, s22, v3
	buffer_load_ubyte v14, v14, s[0:3], 0 offen
	v_mov_b32_e32 v23, s20
	s_add_i32 s22, s22, 1
	v_cmp_eq_u32_e64 s[4:5], s22, v15
	s_waitcnt vmcnt(0)
	v_and_b32_e32 v22, 0xffff, v14
	v_lshlrev_b64 v[22:23], s18, v[22:23]
	s_add_u32 s18, s18, 8
	s_addc_u32 s19, s19, 0
	v_or_b32_e32 v21, v23, v21
	s_or_b64 s[16:17], s[4:5], s[16:17]
	v_or_b32_e32 v20, v22, v20
	s_andn2_b64 exec, exec, s[16:17]
	s_cbranch_execnz .LBB4_49
; %bb.50:                               ;   in Loop: Header=BB4_30 Depth=1
	s_or_b64 exec, exec, s[16:17]
.LBB4_51:                               ;   in Loop: Header=BB4_30 Depth=1
	s_or_b64 exec, exec, s[14:15]
	s_mov_b32 s14, 0
                                        ; implicit-def: $vgpr15
.LBB4_52:                               ;   in Loop: Header=BB4_30 Depth=1
	s_or_saveexec_b64 s[4:5], s[6:7]
	v_mov_b32_e32 v14, s14
	s_xor_b64 exec, exec, s[4:5]
	s_cbranch_execz .LBB4_54
; %bb.53:                               ;   in Loop: Header=BB4_30 Depth=1
	buffer_load_dword v20, v3, s[0:3], 0 offen offset:4
	buffer_load_dword v21, v3, s[0:3], 0 offen
	v_add_u32_e32 v14, -8, v15
	v_add_u32_e32 v3, 8, v3
	s_waitcnt vmcnt(1)
	v_and_b32_e32 v15, 0xff, v20
	v_and_b32_e32 v22, 0xff00, v20
	s_waitcnt vmcnt(0)
	v_or3_b32 v21, v21, 0, 0
	v_and_b32_e32 v23, 0xff0000, v20
	v_and_b32_e32 v24, 0xff000000, v20
	v_or3_b32 v15, 0, v15, v22
	v_or3_b32 v20, v21, 0, 0
	;; [unrolled: 1-line block ×3, first 2 shown]
.LBB4_54:                               ;   in Loop: Header=BB4_30 Depth=1
	s_or_b64 exec, exec, s[4:5]
	v_cmp_gt_u32_e64 s[4:5], 8, v14
                                        ; implicit-def: $vgpr22_vgpr23
                                        ; implicit-def: $sgpr14
	s_and_saveexec_b64 s[6:7], s[4:5]
	s_xor_b64 s[6:7], exec, s[6:7]
	s_cbranch_execz .LBB4_60
; %bb.55:                               ;   in Loop: Header=BB4_30 Depth=1
	v_cmp_ne_u32_e64 s[4:5], 0, v14
	v_pk_mov_b32 v[22:23], 0, 0
	s_and_saveexec_b64 s[14:15], s[4:5]
	s_cbranch_execz .LBB4_59
; %bb.56:                               ;   in Loop: Header=BB4_30 Depth=1
	s_mov_b32 s22, 0
	s_mov_b64 s[16:17], 0
	v_pk_mov_b32 v[22:23], 0, 0
	s_mov_b64 s[18:19], 0
.LBB4_57:                               ;   Parent Loop BB4_30 Depth=1
                                        ; =>  This Inner Loop Header: Depth=2
	v_add_u32_e32 v15, s22, v3
	buffer_load_ubyte v15, v15, s[0:3], 0 offen
	v_mov_b32_e32 v25, s20
	s_add_i32 s22, s22, 1
	v_cmp_eq_u32_e64 s[4:5], s22, v14
	s_waitcnt vmcnt(0)
	v_and_b32_e32 v24, 0xffff, v15
	v_lshlrev_b64 v[24:25], s18, v[24:25]
	s_add_u32 s18, s18, 8
	s_addc_u32 s19, s19, 0
	v_or_b32_e32 v23, v25, v23
	s_or_b64 s[16:17], s[4:5], s[16:17]
	v_or_b32_e32 v22, v24, v22
	s_andn2_b64 exec, exec, s[16:17]
	s_cbranch_execnz .LBB4_57
; %bb.58:                               ;   in Loop: Header=BB4_30 Depth=1
	s_or_b64 exec, exec, s[16:17]
.LBB4_59:                               ;   in Loop: Header=BB4_30 Depth=1
	s_or_b64 exec, exec, s[14:15]
	s_mov_b32 s14, 0
                                        ; implicit-def: $vgpr14
.LBB4_60:                               ;   in Loop: Header=BB4_30 Depth=1
	s_or_saveexec_b64 s[4:5], s[6:7]
	v_mov_b32_e32 v15, s14
	s_xor_b64 exec, exec, s[4:5]
	s_cbranch_execz .LBB4_62
; %bb.61:                               ;   in Loop: Header=BB4_30 Depth=1
	buffer_load_dword v22, v3, s[0:3], 0 offen offset:4
	buffer_load_dword v23, v3, s[0:3], 0 offen
	v_add_u32_e32 v15, -8, v14
	v_add_u32_e32 v3, 8, v3
	s_waitcnt vmcnt(1)
	v_and_b32_e32 v14, 0xff, v22
	v_and_b32_e32 v24, 0xff00, v22
	s_waitcnt vmcnt(0)
	v_or3_b32 v23, v23, 0, 0
	v_and_b32_e32 v25, 0xff0000, v22
	v_and_b32_e32 v26, 0xff000000, v22
	v_or3_b32 v14, 0, v14, v24
	v_or3_b32 v22, v23, 0, 0
	;; [unrolled: 1-line block ×3, first 2 shown]
.LBB4_62:                               ;   in Loop: Header=BB4_30 Depth=1
	s_or_b64 exec, exec, s[4:5]
	v_cmp_gt_u32_e64 s[4:5], 8, v15
                                        ; implicit-def: $sgpr14
	s_and_saveexec_b64 s[6:7], s[4:5]
	s_xor_b64 s[6:7], exec, s[6:7]
	s_cbranch_execz .LBB4_68
; %bb.63:                               ;   in Loop: Header=BB4_30 Depth=1
	v_cmp_ne_u32_e64 s[4:5], 0, v15
	v_pk_mov_b32 v[24:25], 0, 0
	s_and_saveexec_b64 s[14:15], s[4:5]
	s_cbranch_execz .LBB4_67
; %bb.64:                               ;   in Loop: Header=BB4_30 Depth=1
	s_mov_b32 s22, 0
	s_mov_b64 s[16:17], 0
	v_pk_mov_b32 v[24:25], 0, 0
	s_mov_b64 s[18:19], 0
.LBB4_65:                               ;   Parent Loop BB4_30 Depth=1
                                        ; =>  This Inner Loop Header: Depth=2
	v_add_u32_e32 v14, s22, v3
	buffer_load_ubyte v14, v14, s[0:3], 0 offen
	v_mov_b32_e32 v27, s20
	s_add_i32 s22, s22, 1
	v_cmp_eq_u32_e64 s[4:5], s22, v15
	s_waitcnt vmcnt(0)
	v_and_b32_e32 v26, 0xffff, v14
	v_lshlrev_b64 v[26:27], s18, v[26:27]
	s_add_u32 s18, s18, 8
	s_addc_u32 s19, s19, 0
	v_or_b32_e32 v25, v27, v25
	s_or_b64 s[16:17], s[4:5], s[16:17]
	v_or_b32_e32 v24, v26, v24
	s_andn2_b64 exec, exec, s[16:17]
	s_cbranch_execnz .LBB4_65
; %bb.66:                               ;   in Loop: Header=BB4_30 Depth=1
	s_or_b64 exec, exec, s[16:17]
.LBB4_67:                               ;   in Loop: Header=BB4_30 Depth=1
	s_or_b64 exec, exec, s[14:15]
	s_mov_b32 s14, 0
                                        ; implicit-def: $vgpr15
.LBB4_68:                               ;   in Loop: Header=BB4_30 Depth=1
	s_or_saveexec_b64 s[4:5], s[6:7]
	v_mov_b32_e32 v14, s14
	s_xor_b64 exec, exec, s[4:5]
	s_cbranch_execz .LBB4_70
; %bb.69:                               ;   in Loop: Header=BB4_30 Depth=1
	buffer_load_dword v24, v3, s[0:3], 0 offen offset:4
	buffer_load_dword v25, v3, s[0:3], 0 offen
	v_add_u32_e32 v14, -8, v15
	v_add_u32_e32 v3, 8, v3
	s_waitcnt vmcnt(1)
	v_and_b32_e32 v15, 0xff, v24
	v_and_b32_e32 v26, 0xff00, v24
	s_waitcnt vmcnt(0)
	v_or3_b32 v25, v25, 0, 0
	v_and_b32_e32 v27, 0xff0000, v24
	v_and_b32_e32 v28, 0xff000000, v24
	v_or3_b32 v15, 0, v15, v26
	v_or3_b32 v24, v25, 0, 0
	;; [unrolled: 1-line block ×3, first 2 shown]
.LBB4_70:                               ;   in Loop: Header=BB4_30 Depth=1
	s_or_b64 exec, exec, s[4:5]
	v_cmp_gt_u32_e64 s[4:5], 8, v14
                                        ; implicit-def: $vgpr26_vgpr27
                                        ; implicit-def: $sgpr14
	s_and_saveexec_b64 s[6:7], s[4:5]
	s_xor_b64 s[6:7], exec, s[6:7]
	s_cbranch_execz .LBB4_76
; %bb.71:                               ;   in Loop: Header=BB4_30 Depth=1
	v_cmp_ne_u32_e64 s[4:5], 0, v14
	v_pk_mov_b32 v[26:27], 0, 0
	s_and_saveexec_b64 s[14:15], s[4:5]
	s_cbranch_execz .LBB4_75
; %bb.72:                               ;   in Loop: Header=BB4_30 Depth=1
	s_mov_b32 s22, 0
	s_mov_b64 s[16:17], 0
	v_pk_mov_b32 v[26:27], 0, 0
	s_mov_b64 s[18:19], 0
.LBB4_73:                               ;   Parent Loop BB4_30 Depth=1
                                        ; =>  This Inner Loop Header: Depth=2
	v_add_u32_e32 v15, s22, v3
	buffer_load_ubyte v15, v15, s[0:3], 0 offen
	v_mov_b32_e32 v29, s20
	s_add_i32 s22, s22, 1
	v_cmp_eq_u32_e64 s[4:5], s22, v14
	s_waitcnt vmcnt(0)
	v_and_b32_e32 v28, 0xffff, v15
	v_lshlrev_b64 v[28:29], s18, v[28:29]
	s_add_u32 s18, s18, 8
	s_addc_u32 s19, s19, 0
	v_or_b32_e32 v27, v29, v27
	s_or_b64 s[16:17], s[4:5], s[16:17]
	v_or_b32_e32 v26, v28, v26
	s_andn2_b64 exec, exec, s[16:17]
	s_cbranch_execnz .LBB4_73
; %bb.74:                               ;   in Loop: Header=BB4_30 Depth=1
	s_or_b64 exec, exec, s[16:17]
.LBB4_75:                               ;   in Loop: Header=BB4_30 Depth=1
	s_or_b64 exec, exec, s[14:15]
	s_mov_b32 s14, 0
                                        ; implicit-def: $vgpr14
.LBB4_76:                               ;   in Loop: Header=BB4_30 Depth=1
	s_or_saveexec_b64 s[4:5], s[6:7]
	v_mov_b32_e32 v15, s14
	s_xor_b64 exec, exec, s[4:5]
	s_cbranch_execz .LBB4_78
; %bb.77:                               ;   in Loop: Header=BB4_30 Depth=1
	buffer_load_dword v26, v3, s[0:3], 0 offen offset:4
	buffer_load_dword v27, v3, s[0:3], 0 offen
	v_add_u32_e32 v15, -8, v14
	v_add_u32_e32 v3, 8, v3
	s_waitcnt vmcnt(1)
	v_and_b32_e32 v14, 0xff, v26
	v_and_b32_e32 v28, 0xff00, v26
	s_waitcnt vmcnt(0)
	v_or3_b32 v27, v27, 0, 0
	v_and_b32_e32 v29, 0xff0000, v26
	v_and_b32_e32 v30, 0xff000000, v26
	v_or3_b32 v14, 0, v14, v28
	v_or3_b32 v26, v27, 0, 0
	;; [unrolled: 1-line block ×3, first 2 shown]
.LBB4_78:                               ;   in Loop: Header=BB4_30 Depth=1
	s_or_b64 exec, exec, s[4:5]
	v_cmp_gt_u32_e64 s[4:5], 8, v15
	s_and_saveexec_b64 s[6:7], s[4:5]
	s_xor_b64 s[6:7], exec, s[6:7]
	s_cbranch_execz .LBB4_84
; %bb.79:                               ;   in Loop: Header=BB4_30 Depth=1
	v_cmp_ne_u32_e64 s[4:5], 0, v15
	v_pk_mov_b32 v[28:29], 0, 0
	s_and_saveexec_b64 s[14:15], s[4:5]
	s_cbranch_execz .LBB4_83
; %bb.80:                               ;   in Loop: Header=BB4_30 Depth=1
	s_mov_b64 s[16:17], 0
	v_pk_mov_b32 v[28:29], 0, 0
	s_mov_b64 s[18:19], 0
.LBB4_81:                               ;   Parent Loop BB4_30 Depth=1
                                        ; =>  This Inner Loop Header: Depth=2
	buffer_load_ubyte v14, v3, s[0:3], 0 offen
	v_mov_b32_e32 v31, s20
	v_add_u32_e32 v15, -1, v15
	v_cmp_eq_u32_e64 s[4:5], 0, v15
	v_add_u32_e32 v3, 1, v3
	s_waitcnt vmcnt(0)
	v_and_b32_e32 v30, 0xffff, v14
	v_lshlrev_b64 v[30:31], s18, v[30:31]
	s_add_u32 s18, s18, 8
	s_addc_u32 s19, s19, 0
	v_or_b32_e32 v29, v31, v29
	s_or_b64 s[16:17], s[4:5], s[16:17]
	v_or_b32_e32 v28, v30, v28
	s_andn2_b64 exec, exec, s[16:17]
	s_cbranch_execnz .LBB4_81
; %bb.82:                               ;   in Loop: Header=BB4_30 Depth=1
	s_or_b64 exec, exec, s[16:17]
.LBB4_83:                               ;   in Loop: Header=BB4_30 Depth=1
	s_or_b64 exec, exec, s[14:15]
                                        ; implicit-def: $vgpr3
.LBB4_84:                               ;   in Loop: Header=BB4_30 Depth=1
	s_andn2_saveexec_b64 s[4:5], s[6:7]
	s_cbranch_execz .LBB4_86
; %bb.85:                               ;   in Loop: Header=BB4_30 Depth=1
	buffer_load_dword v14, v3, s[0:3], 0 offen offset:4
	s_nop 0
	buffer_load_dword v3, v3, s[0:3], 0 offen
	s_waitcnt vmcnt(1)
	v_and_b32_e32 v15, 0xff, v14
	v_and_b32_e32 v28, 0xff00, v14
	s_waitcnt vmcnt(0)
	v_or3_b32 v3, v3, 0, 0
	v_and_b32_e32 v29, 0xff0000, v14
	v_and_b32_e32 v14, 0xff000000, v14
	v_or3_b32 v15, 0, v15, v28
	v_or3_b32 v29, v15, v29, v14
	;; [unrolled: 1-line block ×3, first 2 shown]
.LBB4_86:                               ;   in Loop: Header=BB4_30 Depth=1
	s_or_b64 exec, exec, s[4:5]
	v_readfirstlane_b32 s4, v49
	v_cmp_eq_u32_e64 s[4:5], s4, v49
	v_pk_mov_b32 v[14:15], 0, 0
	s_and_saveexec_b64 s[14:15], s[4:5]
	s_cbranch_execz .LBB4_92
; %bb.87:                               ;   in Loop: Header=BB4_30 Depth=1
	global_load_dwordx2 v[32:33], v35, s[10:11] offset:24 glc
	s_waitcnt vmcnt(0)
	buffer_invl2
	buffer_wbinvl1_vol
	global_load_dwordx2 v[14:15], v35, s[10:11] offset:40
	global_load_dwordx2 v[30:31], v35, s[10:11]
	s_waitcnt vmcnt(1)
	v_and_b32_e32 v3, v14, v32
	v_and_b32_e32 v14, v15, v33
	v_mul_lo_u32 v14, v14, 24
	v_mul_hi_u32 v15, v3, 24
	v_mul_lo_u32 v3, v3, 24
	v_add_u32_e32 v15, v15, v14
	s_waitcnt vmcnt(0)
	v_add_co_u32_e64 v14, s[6:7], v30, v3
	v_addc_co_u32_e64 v15, s[6:7], v31, v15, s[6:7]
	global_load_dwordx2 v[30:31], v[14:15], off glc
	s_waitcnt vmcnt(0)
	global_atomic_cmpswap_x2 v[14:15], v35, v[30:33], s[10:11] offset:24 glc
	s_waitcnt vmcnt(0)
	buffer_invl2
	buffer_wbinvl1_vol
	v_cmp_ne_u64_e64 s[6:7], v[14:15], v[32:33]
	s_and_saveexec_b64 s[16:17], s[6:7]
	s_cbranch_execz .LBB4_91
; %bb.88:                               ;   in Loop: Header=BB4_30 Depth=1
	s_mov_b64 s[18:19], 0
.LBB4_89:                               ;   Parent Loop BB4_30 Depth=1
                                        ; =>  This Inner Loop Header: Depth=2
	s_sleep 1
	global_load_dwordx2 v[30:31], v35, s[10:11] offset:40
	global_load_dwordx2 v[38:39], v35, s[10:11]
	v_pk_mov_b32 v[32:33], v[14:15], v[14:15] op_sel:[0,1]
	s_waitcnt vmcnt(1)
	v_and_b32_e32 v14, v30, v32
	s_waitcnt vmcnt(0)
	v_mad_u64_u32 v[14:15], s[6:7], v14, 24, v[38:39]
	v_and_b32_e32 v3, v31, v33
	v_mov_b32_e32 v30, v15
	v_mad_u64_u32 v[30:31], s[6:7], v3, 24, v[30:31]
	v_mov_b32_e32 v15, v30
	global_load_dwordx2 v[30:31], v[14:15], off glc
	s_waitcnt vmcnt(0)
	global_atomic_cmpswap_x2 v[14:15], v35, v[30:33], s[10:11] offset:24 glc
	s_waitcnt vmcnt(0)
	buffer_invl2
	buffer_wbinvl1_vol
	v_cmp_eq_u64_e64 s[6:7], v[14:15], v[32:33]
	s_or_b64 s[18:19], s[6:7], s[18:19]
	s_andn2_b64 exec, exec, s[18:19]
	s_cbranch_execnz .LBB4_89
; %bb.90:                               ;   in Loop: Header=BB4_30 Depth=1
	s_or_b64 exec, exec, s[18:19]
.LBB4_91:                               ;   in Loop: Header=BB4_30 Depth=1
	s_or_b64 exec, exec, s[16:17]
.LBB4_92:                               ;   in Loop: Header=BB4_30 Depth=1
	s_or_b64 exec, exec, s[14:15]
	global_load_dwordx2 v[38:39], v35, s[10:11] offset:40
	global_load_dwordx4 v[30:33], v35, s[10:11]
	v_readfirstlane_b32 s14, v14
	v_readfirstlane_b32 s15, v15
	s_mov_b64 s[16:17], exec
	s_waitcnt vmcnt(1)
	v_readfirstlane_b32 s6, v38
	v_readfirstlane_b32 s7, v39
	s_and_b64 s[18:19], s[14:15], s[6:7]
	s_mul_i32 s6, s19, 24
	s_mul_hi_u32 s7, s18, 24
	s_mul_i32 s22, s18, 24
	s_add_i32 s6, s7, s6
	v_mov_b32_e32 v3, s6
	s_waitcnt vmcnt(0)
	v_add_co_u32_e64 v38, s[6:7], s22, v30
	v_addc_co_u32_e64 v39, s[6:7], v31, v3, s[6:7]
	s_and_saveexec_b64 s[6:7], s[4:5]
	s_cbranch_execz .LBB4_94
; %bb.93:                               ;   in Loop: Header=BB4_30 Depth=1
	v_pk_mov_b32 v[14:15], s[16:17], s[16:17] op_sel:[0,1]
	global_store_dwordx4 v[38:39], v[14:17], off offset:8
.LBB4_94:                               ;   in Loop: Header=BB4_30 Depth=1
	s_or_b64 exec, exec, s[6:7]
	s_lshl_b64 s[6:7], s[18:19], 12
	v_cndmask_b32_e32 v15, 0, v1, vcc
	v_mov_b32_e32 v3, s7
	v_add_co_u32_e32 v14, vcc, s6, v32
	v_addc_co_u32_e32 v3, vcc, v33, v3, vcc
	v_or_b32_e32 v32, 0, v9
	v_cmp_lt_u64_e32 vcc, 56, v[0:1]
	v_or_b32_e32 v33, v8, v4
	v_cndmask_b32_e32 v9, v32, v9, vcc
	v_lshl_add_u32 v32, v50, 2, 28
	v_cndmask_b32_e32 v8, v33, v8, vcc
	v_and_b32_e32 v32, 0x1e0, v32
	v_and_or_b32 v8, v8, s21, v32
	v_readfirstlane_b32 s6, v14
	v_readfirstlane_b32 s7, v3
	s_nop 4
	global_store_dwordx4 v48, v[8:11], s[6:7]
	global_store_dwordx4 v48, v[18:21], s[6:7] offset:16
	global_store_dwordx4 v48, v[22:25], s[6:7] offset:32
	;; [unrolled: 1-line block ×3, first 2 shown]
	s_and_saveexec_b64 s[6:7], s[4:5]
	s_cbranch_execz .LBB4_102
; %bb.95:                               ;   in Loop: Header=BB4_30 Depth=1
	global_load_dwordx2 v[22:23], v35, s[10:11] offset:32 glc
	global_load_dwordx2 v[8:9], v35, s[10:11] offset:40
	v_mov_b32_e32 v20, s14
	v_mov_b32_e32 v21, s15
	s_waitcnt vmcnt(0)
	v_readfirstlane_b32 s16, v8
	v_readfirstlane_b32 s17, v9
	s_and_b64 s[16:17], s[16:17], s[14:15]
	s_mul_i32 s17, s17, 24
	s_mul_hi_u32 s18, s16, 24
	s_mul_i32 s16, s16, 24
	s_add_i32 s17, s18, s17
	v_mov_b32_e32 v8, s17
	v_add_co_u32_e32 v18, vcc, s16, v30
	v_addc_co_u32_e32 v19, vcc, v31, v8, vcc
	global_store_dwordx2 v[18:19], v[22:23], off
	buffer_wbl2
	s_waitcnt vmcnt(0)
	global_atomic_cmpswap_x2 v[10:11], v35, v[20:23], s[10:11] offset:32 glc
	s_waitcnt vmcnt(0)
	v_cmp_ne_u64_e32 vcc, v[10:11], v[22:23]
	s_and_saveexec_b64 s[16:17], vcc
	s_cbranch_execz .LBB4_98
; %bb.96:                               ;   in Loop: Header=BB4_30 Depth=1
	s_mov_b64 s[18:19], 0
.LBB4_97:                               ;   Parent Loop BB4_30 Depth=1
                                        ; =>  This Inner Loop Header: Depth=2
	s_sleep 1
	global_store_dwordx2 v[18:19], v[10:11], off
	v_mov_b32_e32 v8, s14
	v_mov_b32_e32 v9, s15
	buffer_wbl2
	s_waitcnt vmcnt(0)
	global_atomic_cmpswap_x2 v[8:9], v35, v[8:11], s[10:11] offset:32 glc
	s_waitcnt vmcnt(0)
	v_cmp_eq_u64_e32 vcc, v[8:9], v[10:11]
	s_or_b64 s[18:19], vcc, s[18:19]
	v_pk_mov_b32 v[10:11], v[8:9], v[8:9] op_sel:[0,1]
	s_andn2_b64 exec, exec, s[18:19]
	s_cbranch_execnz .LBB4_97
.LBB4_98:                               ;   in Loop: Header=BB4_30 Depth=1
	s_or_b64 exec, exec, s[16:17]
	global_load_dwordx2 v[8:9], v35, s[10:11] offset:16
	s_mov_b64 s[18:19], exec
	v_mbcnt_lo_u32_b32 v10, s18, 0
	v_mbcnt_hi_u32_b32 v10, s19, v10
	v_cmp_eq_u32_e32 vcc, 0, v10
	s_and_saveexec_b64 s[16:17], vcc
	s_cbranch_execz .LBB4_100
; %bb.99:                               ;   in Loop: Header=BB4_30 Depth=1
	s_bcnt1_i32_b64 s18, s[18:19]
	v_mov_b32_e32 v34, s18
	buffer_wbl2
	s_waitcnt vmcnt(0)
	global_atomic_add_x2 v[8:9], v[34:35], off offset:8
.LBB4_100:                              ;   in Loop: Header=BB4_30 Depth=1
	s_or_b64 exec, exec, s[16:17]
	s_waitcnt vmcnt(0)
	global_load_dwordx2 v[10:11], v[8:9], off offset:16
	s_waitcnt vmcnt(0)
	v_cmp_eq_u64_e32 vcc, 0, v[10:11]
	s_cbranch_vccnz .LBB4_102
; %bb.101:                              ;   in Loop: Header=BB4_30 Depth=1
	global_load_dword v34, v[8:9], off offset:24
	s_waitcnt vmcnt(0)
	v_and_b32_e32 v8, 0xffffff, v34
	v_readfirstlane_b32 m0, v8
	buffer_wbl2
	global_store_dwordx2 v[10:11], v[34:35], off
	s_sendmsg sendmsg(MSG_INTERRUPT)
.LBB4_102:                              ;   in Loop: Header=BB4_30 Depth=1
	s_or_b64 exec, exec, s[6:7]
	v_add_co_u32_e32 v8, vcc, v14, v48
	v_addc_co_u32_e32 v9, vcc, 0, v3, vcc
	s_branch .LBB4_106
.LBB4_103:                              ;   in Loop: Header=BB4_106 Depth=2
	s_or_b64 exec, exec, s[6:7]
	v_readfirstlane_b32 s6, v3
	s_cmp_eq_u32 s6, 0
	s_cbranch_scc1 .LBB4_105
; %bb.104:                              ;   in Loop: Header=BB4_106 Depth=2
	s_sleep 1
	s_cbranch_execnz .LBB4_106
	s_branch .LBB4_108
.LBB4_105:                              ;   in Loop: Header=BB4_30 Depth=1
	s_branch .LBB4_108
.LBB4_106:                              ;   Parent Loop BB4_30 Depth=1
                                        ; =>  This Inner Loop Header: Depth=2
	v_mov_b32_e32 v3, 1
	s_and_saveexec_b64 s[6:7], s[4:5]
	s_cbranch_execz .LBB4_103
; %bb.107:                              ;   in Loop: Header=BB4_106 Depth=2
	global_load_dword v3, v[38:39], off offset:20 glc
	s_waitcnt vmcnt(0)
	buffer_invl2
	buffer_wbinvl1_vol
	v_and_b32_e32 v3, 1, v3
	s_branch .LBB4_103
.LBB4_108:                              ;   in Loop: Header=BB4_30 Depth=1
	global_load_dwordx4 v[8:11], v[8:9], off
	s_and_saveexec_b64 s[6:7], s[4:5]
	s_cbranch_execz .LBB4_29
; %bb.109:                              ;   in Loop: Header=BB4_30 Depth=1
	global_load_dwordx2 v[10:11], v35, s[10:11] offset:40
	global_load_dwordx2 v[22:23], v35, s[10:11] offset:24 glc
	global_load_dwordx2 v[24:25], v35, s[10:11]
	v_mov_b32_e32 v3, s15
	s_waitcnt vmcnt(2)
	v_add_co_u32_e32 v14, vcc, 1, v10
	v_addc_co_u32_e32 v21, vcc, 0, v11, vcc
	v_add_co_u32_e32 v18, vcc, s14, v14
	v_addc_co_u32_e32 v19, vcc, v21, v3, vcc
	v_cmp_eq_u64_e32 vcc, 0, v[18:19]
	v_cndmask_b32_e32 v19, v19, v21, vcc
	v_cndmask_b32_e32 v18, v18, v14, vcc
	v_and_b32_e32 v3, v19, v11
	v_and_b32_e32 v10, v18, v10
	v_mul_lo_u32 v3, v3, 24
	v_mul_hi_u32 v11, v10, 24
	v_mul_lo_u32 v10, v10, 24
	v_add_u32_e32 v3, v11, v3
	s_waitcnt vmcnt(0)
	v_add_co_u32_e32 v10, vcc, v24, v10
	v_addc_co_u32_e32 v11, vcc, v25, v3, vcc
	v_mov_b32_e32 v20, v22
	global_store_dwordx2 v[10:11], v[22:23], off
	v_mov_b32_e32 v21, v23
	buffer_wbl2
	s_waitcnt vmcnt(0)
	global_atomic_cmpswap_x2 v[20:21], v35, v[18:21], s[10:11] offset:24 glc
	s_waitcnt vmcnt(0)
	v_cmp_ne_u64_e32 vcc, v[20:21], v[22:23]
	s_and_b64 exec, exec, vcc
	s_cbranch_execz .LBB4_29
; %bb.110:                              ;   in Loop: Header=BB4_30 Depth=1
	s_mov_b64 s[4:5], 0
.LBB4_111:                              ;   Parent Loop BB4_30 Depth=1
                                        ; =>  This Inner Loop Header: Depth=2
	s_sleep 1
	global_store_dwordx2 v[10:11], v[20:21], off
	buffer_wbl2
	s_waitcnt vmcnt(0)
	global_atomic_cmpswap_x2 v[22:23], v35, v[18:21], s[10:11] offset:24 glc
	s_waitcnt vmcnt(0)
	v_cmp_eq_u64_e32 vcc, v[22:23], v[20:21]
	s_or_b64 s[4:5], vcc, s[4:5]
	v_pk_mov_b32 v[20:21], v[22:23], v[22:23] op_sel:[0,1]
	s_andn2_b64 exec, exec, s[4:5]
	s_cbranch_execnz .LBB4_111
	s_branch .LBB4_29
.LBB4_112:
                                        ; implicit-def: $vgpr8_vgpr9
	s_cbranch_execnz .LBB4_114
	s_branch .LBB4_140
.LBB4_113:
	s_or_b64 exec, exec, s[12:13]
	s_branch .LBB4_140
.LBB4_114:
	v_readfirstlane_b32 s4, v49
	v_cmp_eq_u32_e64 s[4:5], s4, v49
	v_pk_mov_b32 v[0:1], 0, 0
	s_and_saveexec_b64 s[6:7], s[4:5]
	s_cbranch_execz .LBB4_120
; %bb.115:
	v_mov_b32_e32 v3, 0
	global_load_dwordx2 v[10:11], v3, s[10:11] offset:24 glc
	s_waitcnt vmcnt(0)
	buffer_invl2
	buffer_wbinvl1_vol
	global_load_dwordx2 v[0:1], v3, s[10:11] offset:40
	global_load_dwordx2 v[4:5], v3, s[10:11]
	s_waitcnt vmcnt(1)
	v_and_b32_e32 v0, v0, v10
	v_and_b32_e32 v1, v1, v11
	v_mul_lo_u32 v1, v1, 24
	v_mul_hi_u32 v8, v0, 24
	v_mul_lo_u32 v0, v0, 24
	v_add_u32_e32 v1, v8, v1
	s_waitcnt vmcnt(0)
	v_add_co_u32_e32 v0, vcc, v4, v0
	v_addc_co_u32_e32 v1, vcc, v5, v1, vcc
	global_load_dwordx2 v[8:9], v[0:1], off glc
	s_waitcnt vmcnt(0)
	global_atomic_cmpswap_x2 v[0:1], v3, v[8:11], s[10:11] offset:24 glc
	s_waitcnt vmcnt(0)
	buffer_invl2
	buffer_wbinvl1_vol
	v_cmp_ne_u64_e32 vcc, v[0:1], v[10:11]
	s_and_saveexec_b64 s[12:13], vcc
	s_cbranch_execz .LBB4_119
; %bb.116:
	s_mov_b64 s[14:15], 0
.LBB4_117:                              ; =>This Inner Loop Header: Depth=1
	s_sleep 1
	global_load_dwordx2 v[4:5], v3, s[10:11] offset:40
	global_load_dwordx2 v[8:9], v3, s[10:11]
	v_pk_mov_b32 v[10:11], v[0:1], v[0:1] op_sel:[0,1]
	s_waitcnt vmcnt(1)
	v_and_b32_e32 v0, v4, v10
	s_waitcnt vmcnt(0)
	v_mad_u64_u32 v[0:1], s[16:17], v0, 24, v[8:9]
	v_and_b32_e32 v5, v5, v11
	v_mov_b32_e32 v4, v1
	v_mad_u64_u32 v[4:5], s[16:17], v5, 24, v[4:5]
	v_mov_b32_e32 v1, v4
	global_load_dwordx2 v[8:9], v[0:1], off glc
	s_waitcnt vmcnt(0)
	global_atomic_cmpswap_x2 v[0:1], v3, v[8:11], s[10:11] offset:24 glc
	s_waitcnt vmcnt(0)
	buffer_invl2
	buffer_wbinvl1_vol
	v_cmp_eq_u64_e32 vcc, v[0:1], v[10:11]
	s_or_b64 s[14:15], vcc, s[14:15]
	s_andn2_b64 exec, exec, s[14:15]
	s_cbranch_execnz .LBB4_117
; %bb.118:
	s_or_b64 exec, exec, s[14:15]
.LBB4_119:
	s_or_b64 exec, exec, s[12:13]
.LBB4_120:
	s_or_b64 exec, exec, s[6:7]
	v_mov_b32_e32 v14, 0
	global_load_dwordx2 v[4:5], v14, s[10:11] offset:40
	global_load_dwordx4 v[8:11], v14, s[10:11]
	v_readfirstlane_b32 s6, v0
	v_readfirstlane_b32 s7, v1
	s_mov_b64 s[12:13], exec
	s_waitcnt vmcnt(1)
	v_readfirstlane_b32 s14, v4
	v_readfirstlane_b32 s15, v5
	s_and_b64 s[14:15], s[6:7], s[14:15]
	s_mul_i32 s16, s15, 24
	s_mul_hi_u32 s17, s14, 24
	s_mul_i32 s18, s14, 24
	s_add_i32 s16, s17, s16
	v_mov_b32_e32 v1, s16
	s_waitcnt vmcnt(0)
	v_add_co_u32_e32 v0, vcc, s18, v8
	v_addc_co_u32_e32 v1, vcc, v9, v1, vcc
	s_and_saveexec_b64 s[16:17], s[4:5]
	s_cbranch_execz .LBB4_122
; %bb.121:
	v_pk_mov_b32 v[16:17], s[12:13], s[12:13] op_sel:[0,1]
	v_mov_b32_e32 v18, 2
	v_mov_b32_e32 v19, 1
	global_store_dwordx4 v[0:1], v[16:19], off offset:8
.LBB4_122:
	s_or_b64 exec, exec, s[16:17]
	s_lshl_b64 s[12:13], s[14:15], 12
	v_mov_b32_e32 v3, s13
	v_add_co_u32_e32 v10, vcc, s12, v10
	s_movk_i32 s12, 0xff1f
	v_addc_co_u32_e32 v3, vcc, v11, v3, vcc
	v_and_or_b32 v12, v12, s12, 32
	s_mov_b32 s12, 0
	v_mov_b32_e32 v15, v14
	v_readfirstlane_b32 s16, v10
	v_readfirstlane_b32 s17, v3
	s_mov_b32 s13, s12
	v_add_co_u32_e32 v4, vcc, v10, v48
	s_mov_b32 s14, s12
	s_mov_b32 s15, s12
	s_nop 0
	global_store_dwordx4 v48, v[12:15], s[16:17]
	v_pk_mov_b32 v[10:11], s[12:13], s[12:13] op_sel:[0,1]
	v_addc_co_u32_e32 v5, vcc, 0, v3, vcc
	v_pk_mov_b32 v[12:13], s[14:15], s[14:15] op_sel:[0,1]
	global_store_dwordx4 v48, v[10:13], s[16:17] offset:16
	global_store_dwordx4 v48, v[10:13], s[16:17] offset:32
	;; [unrolled: 1-line block ×3, first 2 shown]
	s_and_saveexec_b64 s[12:13], s[4:5]
	s_cbranch_execz .LBB4_130
; %bb.123:
	v_mov_b32_e32 v3, 0
	global_load_dwordx2 v[16:17], v3, s[10:11] offset:32 glc
	global_load_dwordx2 v[10:11], v3, s[10:11] offset:40
	v_mov_b32_e32 v14, s6
	v_mov_b32_e32 v15, s7
	s_waitcnt vmcnt(0)
	v_readfirstlane_b32 s14, v10
	v_readfirstlane_b32 s15, v11
	s_and_b64 s[14:15], s[14:15], s[6:7]
	s_mul_i32 s15, s15, 24
	s_mul_hi_u32 s16, s14, 24
	s_mul_i32 s14, s14, 24
	s_add_i32 s15, s16, s15
	v_mov_b32_e32 v10, s15
	v_add_co_u32_e32 v12, vcc, s14, v8
	v_addc_co_u32_e32 v13, vcc, v9, v10, vcc
	global_store_dwordx2 v[12:13], v[16:17], off
	buffer_wbl2
	s_waitcnt vmcnt(0)
	global_atomic_cmpswap_x2 v[10:11], v3, v[14:17], s[10:11] offset:32 glc
	s_waitcnt vmcnt(0)
	v_cmp_ne_u64_e32 vcc, v[10:11], v[16:17]
	s_and_saveexec_b64 s[14:15], vcc
	s_cbranch_execz .LBB4_126
; %bb.124:
	s_mov_b64 s[16:17], 0
.LBB4_125:                              ; =>This Inner Loop Header: Depth=1
	s_sleep 1
	global_store_dwordx2 v[12:13], v[10:11], off
	v_mov_b32_e32 v8, s6
	v_mov_b32_e32 v9, s7
	buffer_wbl2
	s_waitcnt vmcnt(0)
	global_atomic_cmpswap_x2 v[8:9], v3, v[8:11], s[10:11] offset:32 glc
	s_waitcnt vmcnt(0)
	v_cmp_eq_u64_e32 vcc, v[8:9], v[10:11]
	s_or_b64 s[16:17], vcc, s[16:17]
	v_pk_mov_b32 v[10:11], v[8:9], v[8:9] op_sel:[0,1]
	s_andn2_b64 exec, exec, s[16:17]
	s_cbranch_execnz .LBB4_125
.LBB4_126:
	s_or_b64 exec, exec, s[14:15]
	v_mov_b32_e32 v11, 0
	global_load_dwordx2 v[8:9], v11, s[10:11] offset:16
	s_mov_b64 s[14:15], exec
	v_mbcnt_lo_u32_b32 v3, s14, 0
	v_mbcnt_hi_u32_b32 v3, s15, v3
	v_cmp_eq_u32_e32 vcc, 0, v3
	s_and_saveexec_b64 s[16:17], vcc
	s_cbranch_execz .LBB4_128
; %bb.127:
	s_bcnt1_i32_b64 s14, s[14:15]
	v_mov_b32_e32 v10, s14
	buffer_wbl2
	s_waitcnt vmcnt(0)
	global_atomic_add_x2 v[8:9], v[10:11], off offset:8
.LBB4_128:
	s_or_b64 exec, exec, s[16:17]
	s_waitcnt vmcnt(0)
	global_load_dwordx2 v[10:11], v[8:9], off offset:16
	s_waitcnt vmcnt(0)
	v_cmp_eq_u64_e32 vcc, 0, v[10:11]
	s_cbranch_vccnz .LBB4_130
; %bb.129:
	global_load_dword v8, v[8:9], off offset:24
	v_mov_b32_e32 v9, 0
	s_waitcnt vmcnt(0)
	v_and_b32_e32 v3, 0xffffff, v8
	v_readfirstlane_b32 m0, v3
	buffer_wbl2
	global_store_dwordx2 v[10:11], v[8:9], off
	s_sendmsg sendmsg(MSG_INTERRUPT)
.LBB4_130:
	s_or_b64 exec, exec, s[12:13]
	s_branch .LBB4_134
.LBB4_131:                              ;   in Loop: Header=BB4_134 Depth=1
	s_or_b64 exec, exec, s[12:13]
	v_readfirstlane_b32 s12, v3
	s_cmp_eq_u32 s12, 0
	s_cbranch_scc1 .LBB4_133
; %bb.132:                              ;   in Loop: Header=BB4_134 Depth=1
	s_sleep 1
	s_cbranch_execnz .LBB4_134
	s_branch .LBB4_136
.LBB4_133:
	s_branch .LBB4_136
.LBB4_134:                              ; =>This Inner Loop Header: Depth=1
	v_mov_b32_e32 v3, 1
	s_and_saveexec_b64 s[12:13], s[4:5]
	s_cbranch_execz .LBB4_131
; %bb.135:                              ;   in Loop: Header=BB4_134 Depth=1
	global_load_dword v3, v[0:1], off offset:20 glc
	s_waitcnt vmcnt(0)
	buffer_invl2
	buffer_wbinvl1_vol
	v_and_b32_e32 v3, 1, v3
	s_branch .LBB4_131
.LBB4_136:
	global_load_dwordx2 v[8:9], v[4:5], off
	s_and_saveexec_b64 s[12:13], s[4:5]
	s_cbranch_execz .LBB4_139
; %bb.137:
	v_mov_b32_e32 v3, 0
	global_load_dwordx2 v[0:1], v3, s[10:11] offset:40
	global_load_dwordx2 v[4:5], v3, s[10:11] offset:24 glc
	global_load_dwordx2 v[14:15], v3, s[10:11]
	v_mov_b32_e32 v11, s7
	s_mov_b64 s[4:5], 0
	s_waitcnt vmcnt(2)
	v_add_co_u32_e32 v13, vcc, 1, v0
	v_addc_co_u32_e32 v16, vcc, 0, v1, vcc
	v_add_co_u32_e32 v10, vcc, s6, v13
	v_addc_co_u32_e32 v11, vcc, v16, v11, vcc
	v_cmp_eq_u64_e32 vcc, 0, v[10:11]
	v_cndmask_b32_e32 v11, v11, v16, vcc
	v_cndmask_b32_e32 v10, v10, v13, vcc
	v_and_b32_e32 v1, v11, v1
	v_and_b32_e32 v0, v10, v0
	v_mul_lo_u32 v1, v1, 24
	v_mul_hi_u32 v13, v0, 24
	v_mul_lo_u32 v0, v0, 24
	v_add_u32_e32 v1, v13, v1
	s_waitcnt vmcnt(0)
	v_add_co_u32_e32 v0, vcc, v14, v0
	v_addc_co_u32_e32 v1, vcc, v15, v1, vcc
	v_mov_b32_e32 v12, v4
	global_store_dwordx2 v[0:1], v[4:5], off
	v_mov_b32_e32 v13, v5
	buffer_wbl2
	s_waitcnt vmcnt(0)
	global_atomic_cmpswap_x2 v[12:13], v3, v[10:13], s[10:11] offset:24 glc
	s_waitcnt vmcnt(0)
	v_cmp_ne_u64_e32 vcc, v[12:13], v[4:5]
	s_and_b64 exec, exec, vcc
	s_cbranch_execz .LBB4_139
.LBB4_138:                              ; =>This Inner Loop Header: Depth=1
	s_sleep 1
	global_store_dwordx2 v[0:1], v[12:13], off
	buffer_wbl2
	s_waitcnt vmcnt(0)
	global_atomic_cmpswap_x2 v[4:5], v3, v[10:13], s[10:11] offset:24 glc
	s_waitcnt vmcnt(0)
	v_cmp_eq_u64_e32 vcc, v[4:5], v[12:13]
	s_or_b64 s[4:5], vcc, s[4:5]
	v_pk_mov_b32 v[12:13], v[4:5], v[4:5] op_sel:[0,1]
	s_andn2_b64 exec, exec, s[4:5]
	s_cbranch_execnz .LBB4_138
.LBB4_139:
	s_or_b64 exec, exec, s[12:13]
.LBB4_140:
	s_getpc_b64 s[6:7]
	s_add_u32 s6, s6, .str.1@rel32@lo+4
	s_addc_u32 s7, s7, .str.1@rel32@hi+12
	s_cmp_lg_u64 s[6:7], 0
	s_cbranch_scc0 .LBB4_224
; %bb.141:
	s_getpc_b64 s[4:5]
	s_add_u32 s4, s4, .str.1@rel32@lo+88
	s_addc_u32 s5, s5, .str.1@rel32@hi+96
	s_sub_i32 s12, s4, s6
	s_ashr_i32 s13, s12, 31
	s_waitcnt vmcnt(0)
	v_and_b32_e32 v0, 2, v8
	v_mov_b32_e32 v5, 0
	v_and_b32_e32 v10, -3, v8
	v_mov_b32_e32 v11, v9
	v_mov_b32_e32 v14, 2
	;; [unrolled: 1-line block ×3, first 2 shown]
	s_branch .LBB4_143
.LBB4_142:                              ;   in Loop: Header=BB4_143 Depth=1
	s_or_b64 exec, exec, s[18:19]
	s_sub_u32 s12, s12, s14
	s_subb_u32 s13, s13, s15
	s_add_u32 s6, s6, s14
	s_addc_u32 s7, s7, s15
	s_cmp_lg_u64 s[12:13], 0
	s_cbranch_scc0 .LBB4_225
.LBB4_143:                              ; =>This Loop Header: Depth=1
                                        ;     Child Loop BB4_146 Depth 2
                                        ;     Child Loop BB4_153 Depth 2
	;; [unrolled: 1-line block ×11, first 2 shown]
	v_cmp_lt_u64_e64 s[4:5], s[12:13], 56
	s_and_b64 s[4:5], s[4:5], exec
	v_cmp_gt_u64_e64 s[4:5], s[12:13], 7
	s_cselect_b32 s15, s13, 0
	s_cselect_b32 s14, s12, 56
	s_and_b64 vcc, exec, s[4:5]
	s_cbranch_vccnz .LBB4_148
; %bb.144:                              ;   in Loop: Header=BB4_143 Depth=1
	s_mov_b64 s[4:5], 0
	s_cmp_eq_u64 s[12:13], 0
	v_pk_mov_b32 v[18:19], 0, 0
	s_cbranch_scc1 .LBB4_147
; %bb.145:                              ;   in Loop: Header=BB4_143 Depth=1
	s_lshl_b64 s[16:17], s[14:15], 3
	s_mov_b64 s[18:19], 0
	v_pk_mov_b32 v[18:19], 0, 0
	s_mov_b64 s[20:21], s[6:7]
.LBB4_146:                              ;   Parent Loop BB4_143 Depth=1
                                        ; =>  This Inner Loop Header: Depth=2
	global_load_ubyte v1, v5, s[20:21]
	s_waitcnt vmcnt(0)
	v_and_b32_e32 v4, 0xffff, v1
	v_lshlrev_b64 v[12:13], s18, v[4:5]
	s_add_u32 s18, s18, 8
	s_addc_u32 s19, s19, 0
	s_add_u32 s20, s20, 1
	s_addc_u32 s21, s21, 0
	v_or_b32_e32 v18, v12, v18
	s_cmp_lg_u32 s16, s18
	v_or_b32_e32 v19, v13, v19
	s_cbranch_scc1 .LBB4_146
.LBB4_147:                              ;   in Loop: Header=BB4_143 Depth=1
	s_mov_b32 s20, 0
	s_andn2_b64 vcc, exec, s[4:5]
	s_mov_b64 s[4:5], s[6:7]
	s_cbranch_vccz .LBB4_149
	s_branch .LBB4_150
.LBB4_148:                              ;   in Loop: Header=BB4_143 Depth=1
                                        ; implicit-def: $vgpr18_vgpr19
                                        ; implicit-def: $sgpr20
	s_mov_b64 s[4:5], s[6:7]
.LBB4_149:                              ;   in Loop: Header=BB4_143 Depth=1
	global_load_dwordx2 v[18:19], v5, s[6:7]
	s_add_i32 s20, s14, -8
	s_add_u32 s4, s6, 8
	s_addc_u32 s5, s7, 0
.LBB4_150:                              ;   in Loop: Header=BB4_143 Depth=1
	s_cmp_gt_u32 s20, 7
	s_cbranch_scc1 .LBB4_154
; %bb.151:                              ;   in Loop: Header=BB4_143 Depth=1
	s_cmp_eq_u32 s20, 0
	s_cbranch_scc1 .LBB4_155
; %bb.152:                              ;   in Loop: Header=BB4_143 Depth=1
	s_mov_b64 s[16:17], 0
	v_pk_mov_b32 v[20:21], 0, 0
	s_mov_b64 s[18:19], 0
.LBB4_153:                              ;   Parent Loop BB4_143 Depth=1
                                        ; =>  This Inner Loop Header: Depth=2
	s_add_u32 s22, s4, s18
	s_addc_u32 s23, s5, s19
	global_load_ubyte v1, v5, s[22:23]
	s_add_u32 s18, s18, 1
	s_addc_u32 s19, s19, 0
	s_waitcnt vmcnt(0)
	v_and_b32_e32 v4, 0xffff, v1
	v_lshlrev_b64 v[12:13], s16, v[4:5]
	s_add_u32 s16, s16, 8
	s_addc_u32 s17, s17, 0
	v_or_b32_e32 v20, v12, v20
	s_cmp_lg_u32 s20, s18
	v_or_b32_e32 v21, v13, v21
	s_cbranch_scc1 .LBB4_153
	s_branch .LBB4_156
.LBB4_154:                              ;   in Loop: Header=BB4_143 Depth=1
                                        ; implicit-def: $vgpr20_vgpr21
                                        ; implicit-def: $sgpr21
	s_branch .LBB4_157
.LBB4_155:                              ;   in Loop: Header=BB4_143 Depth=1
	v_pk_mov_b32 v[20:21], 0, 0
.LBB4_156:                              ;   in Loop: Header=BB4_143 Depth=1
	s_mov_b32 s21, 0
	s_cbranch_execnz .LBB4_158
.LBB4_157:                              ;   in Loop: Header=BB4_143 Depth=1
	global_load_dwordx2 v[20:21], v5, s[4:5]
	s_add_i32 s21, s20, -8
	s_add_u32 s4, s4, 8
	s_addc_u32 s5, s5, 0
.LBB4_158:                              ;   in Loop: Header=BB4_143 Depth=1
	s_cmp_gt_u32 s21, 7
	s_cbranch_scc1 .LBB4_162
; %bb.159:                              ;   in Loop: Header=BB4_143 Depth=1
	s_cmp_eq_u32 s21, 0
	s_cbranch_scc1 .LBB4_163
; %bb.160:                              ;   in Loop: Header=BB4_143 Depth=1
	s_mov_b64 s[16:17], 0
	v_pk_mov_b32 v[22:23], 0, 0
	s_mov_b64 s[18:19], 0
.LBB4_161:                              ;   Parent Loop BB4_143 Depth=1
                                        ; =>  This Inner Loop Header: Depth=2
	s_add_u32 s22, s4, s18
	s_addc_u32 s23, s5, s19
	global_load_ubyte v1, v5, s[22:23]
	s_add_u32 s18, s18, 1
	s_addc_u32 s19, s19, 0
	s_waitcnt vmcnt(0)
	v_and_b32_e32 v4, 0xffff, v1
	v_lshlrev_b64 v[12:13], s16, v[4:5]
	s_add_u32 s16, s16, 8
	s_addc_u32 s17, s17, 0
	v_or_b32_e32 v22, v12, v22
	s_cmp_lg_u32 s21, s18
	v_or_b32_e32 v23, v13, v23
	s_cbranch_scc1 .LBB4_161
	s_branch .LBB4_164
.LBB4_162:                              ;   in Loop: Header=BB4_143 Depth=1
                                        ; implicit-def: $sgpr20
	s_branch .LBB4_165
.LBB4_163:                              ;   in Loop: Header=BB4_143 Depth=1
	v_pk_mov_b32 v[22:23], 0, 0
.LBB4_164:                              ;   in Loop: Header=BB4_143 Depth=1
	s_mov_b32 s20, 0
	s_cbranch_execnz .LBB4_166
.LBB4_165:                              ;   in Loop: Header=BB4_143 Depth=1
	global_load_dwordx2 v[22:23], v5, s[4:5]
	s_add_i32 s20, s21, -8
	s_add_u32 s4, s4, 8
	s_addc_u32 s5, s5, 0
.LBB4_166:                              ;   in Loop: Header=BB4_143 Depth=1
	s_cmp_gt_u32 s20, 7
	s_cbranch_scc1 .LBB4_170
; %bb.167:                              ;   in Loop: Header=BB4_143 Depth=1
	s_cmp_eq_u32 s20, 0
	s_cbranch_scc1 .LBB4_171
; %bb.168:                              ;   in Loop: Header=BB4_143 Depth=1
	s_mov_b64 s[16:17], 0
	v_pk_mov_b32 v[24:25], 0, 0
	s_mov_b64 s[18:19], 0
.LBB4_169:                              ;   Parent Loop BB4_143 Depth=1
                                        ; =>  This Inner Loop Header: Depth=2
	s_add_u32 s22, s4, s18
	s_addc_u32 s23, s5, s19
	global_load_ubyte v1, v5, s[22:23]
	s_add_u32 s18, s18, 1
	s_addc_u32 s19, s19, 0
	s_waitcnt vmcnt(0)
	v_and_b32_e32 v4, 0xffff, v1
	v_lshlrev_b64 v[12:13], s16, v[4:5]
	s_add_u32 s16, s16, 8
	s_addc_u32 s17, s17, 0
	v_or_b32_e32 v24, v12, v24
	s_cmp_lg_u32 s20, s18
	v_or_b32_e32 v25, v13, v25
	s_cbranch_scc1 .LBB4_169
	s_branch .LBB4_172
.LBB4_170:                              ;   in Loop: Header=BB4_143 Depth=1
                                        ; implicit-def: $vgpr24_vgpr25
                                        ; implicit-def: $sgpr21
	s_branch .LBB4_173
.LBB4_171:                              ;   in Loop: Header=BB4_143 Depth=1
	v_pk_mov_b32 v[24:25], 0, 0
.LBB4_172:                              ;   in Loop: Header=BB4_143 Depth=1
	s_mov_b32 s21, 0
	s_cbranch_execnz .LBB4_174
.LBB4_173:                              ;   in Loop: Header=BB4_143 Depth=1
	global_load_dwordx2 v[24:25], v5, s[4:5]
	s_add_i32 s21, s20, -8
	s_add_u32 s4, s4, 8
	s_addc_u32 s5, s5, 0
.LBB4_174:                              ;   in Loop: Header=BB4_143 Depth=1
	s_cmp_gt_u32 s21, 7
	s_cbranch_scc1 .LBB4_178
; %bb.175:                              ;   in Loop: Header=BB4_143 Depth=1
	s_cmp_eq_u32 s21, 0
	s_cbranch_scc1 .LBB4_179
; %bb.176:                              ;   in Loop: Header=BB4_143 Depth=1
	s_mov_b64 s[16:17], 0
	v_pk_mov_b32 v[26:27], 0, 0
	s_mov_b64 s[18:19], 0
.LBB4_177:                              ;   Parent Loop BB4_143 Depth=1
                                        ; =>  This Inner Loop Header: Depth=2
	s_add_u32 s22, s4, s18
	s_addc_u32 s23, s5, s19
	global_load_ubyte v1, v5, s[22:23]
	s_add_u32 s18, s18, 1
	s_addc_u32 s19, s19, 0
	s_waitcnt vmcnt(0)
	v_and_b32_e32 v4, 0xffff, v1
	v_lshlrev_b64 v[12:13], s16, v[4:5]
	s_add_u32 s16, s16, 8
	s_addc_u32 s17, s17, 0
	v_or_b32_e32 v26, v12, v26
	s_cmp_lg_u32 s21, s18
	v_or_b32_e32 v27, v13, v27
	s_cbranch_scc1 .LBB4_177
	s_branch .LBB4_180
.LBB4_178:                              ;   in Loop: Header=BB4_143 Depth=1
                                        ; implicit-def: $sgpr20
	s_branch .LBB4_181
.LBB4_179:                              ;   in Loop: Header=BB4_143 Depth=1
	v_pk_mov_b32 v[26:27], 0, 0
.LBB4_180:                              ;   in Loop: Header=BB4_143 Depth=1
	s_mov_b32 s20, 0
	s_cbranch_execnz .LBB4_182
.LBB4_181:                              ;   in Loop: Header=BB4_143 Depth=1
	global_load_dwordx2 v[26:27], v5, s[4:5]
	s_add_i32 s20, s21, -8
	s_add_u32 s4, s4, 8
	s_addc_u32 s5, s5, 0
.LBB4_182:                              ;   in Loop: Header=BB4_143 Depth=1
	s_cmp_gt_u32 s20, 7
	s_cbranch_scc1 .LBB4_186
; %bb.183:                              ;   in Loop: Header=BB4_143 Depth=1
	s_cmp_eq_u32 s20, 0
	s_cbranch_scc1 .LBB4_187
; %bb.184:                              ;   in Loop: Header=BB4_143 Depth=1
	s_mov_b64 s[16:17], 0
	v_pk_mov_b32 v[28:29], 0, 0
	s_mov_b64 s[18:19], 0
.LBB4_185:                              ;   Parent Loop BB4_143 Depth=1
                                        ; =>  This Inner Loop Header: Depth=2
	s_add_u32 s22, s4, s18
	s_addc_u32 s23, s5, s19
	global_load_ubyte v1, v5, s[22:23]
	s_add_u32 s18, s18, 1
	s_addc_u32 s19, s19, 0
	s_waitcnt vmcnt(0)
	v_and_b32_e32 v4, 0xffff, v1
	v_lshlrev_b64 v[12:13], s16, v[4:5]
	s_add_u32 s16, s16, 8
	s_addc_u32 s17, s17, 0
	v_or_b32_e32 v28, v12, v28
	s_cmp_lg_u32 s20, s18
	v_or_b32_e32 v29, v13, v29
	s_cbranch_scc1 .LBB4_185
	s_branch .LBB4_188
.LBB4_186:                              ;   in Loop: Header=BB4_143 Depth=1
                                        ; implicit-def: $vgpr28_vgpr29
                                        ; implicit-def: $sgpr21
	s_branch .LBB4_189
.LBB4_187:                              ;   in Loop: Header=BB4_143 Depth=1
	v_pk_mov_b32 v[28:29], 0, 0
.LBB4_188:                              ;   in Loop: Header=BB4_143 Depth=1
	s_mov_b32 s21, 0
	s_cbranch_execnz .LBB4_190
.LBB4_189:                              ;   in Loop: Header=BB4_143 Depth=1
	global_load_dwordx2 v[28:29], v5, s[4:5]
	s_add_i32 s21, s20, -8
	s_add_u32 s4, s4, 8
	s_addc_u32 s5, s5, 0
.LBB4_190:                              ;   in Loop: Header=BB4_143 Depth=1
	s_cmp_gt_u32 s21, 7
	s_cbranch_scc1 .LBB4_194
; %bb.191:                              ;   in Loop: Header=BB4_143 Depth=1
	s_cmp_eq_u32 s21, 0
	s_cbranch_scc1 .LBB4_195
; %bb.192:                              ;   in Loop: Header=BB4_143 Depth=1
	s_mov_b64 s[16:17], 0
	v_pk_mov_b32 v[30:31], 0, 0
	s_mov_b64 s[18:19], s[4:5]
.LBB4_193:                              ;   Parent Loop BB4_143 Depth=1
                                        ; =>  This Inner Loop Header: Depth=2
	global_load_ubyte v1, v5, s[18:19]
	s_add_i32 s21, s21, -1
	s_waitcnt vmcnt(0)
	v_and_b32_e32 v4, 0xffff, v1
	v_lshlrev_b64 v[12:13], s16, v[4:5]
	s_add_u32 s16, s16, 8
	s_addc_u32 s17, s17, 0
	s_add_u32 s18, s18, 1
	s_addc_u32 s19, s19, 0
	v_or_b32_e32 v30, v12, v30
	s_cmp_lg_u32 s21, 0
	v_or_b32_e32 v31, v13, v31
	s_cbranch_scc1 .LBB4_193
	s_branch .LBB4_196
.LBB4_194:                              ;   in Loop: Header=BB4_143 Depth=1
	s_branch .LBB4_197
.LBB4_195:                              ;   in Loop: Header=BB4_143 Depth=1
	v_pk_mov_b32 v[30:31], 0, 0
.LBB4_196:                              ;   in Loop: Header=BB4_143 Depth=1
	s_cbranch_execnz .LBB4_198
.LBB4_197:                              ;   in Loop: Header=BB4_143 Depth=1
	global_load_dwordx2 v[30:31], v5, s[4:5]
.LBB4_198:                              ;   in Loop: Header=BB4_143 Depth=1
	v_readfirstlane_b32 s4, v49
	v_cmp_eq_u32_e64 s[4:5], s4, v49
	s_waitcnt vmcnt(0)
	v_pk_mov_b32 v[12:13], 0, 0
	s_and_saveexec_b64 s[16:17], s[4:5]
	s_cbranch_execz .LBB4_204
; %bb.199:                              ;   in Loop: Header=BB4_143 Depth=1
	global_load_dwordx2 v[34:35], v5, s[10:11] offset:24 glc
	s_waitcnt vmcnt(0)
	buffer_invl2
	buffer_wbinvl1_vol
	global_load_dwordx2 v[12:13], v5, s[10:11] offset:40
	global_load_dwordx2 v[16:17], v5, s[10:11]
	s_waitcnt vmcnt(1)
	v_and_b32_e32 v1, v12, v34
	v_and_b32_e32 v3, v13, v35
	v_mul_lo_u32 v3, v3, 24
	v_mul_hi_u32 v4, v1, 24
	v_mul_lo_u32 v1, v1, 24
	v_add_u32_e32 v3, v4, v3
	s_waitcnt vmcnt(0)
	v_add_co_u32_e32 v12, vcc, v16, v1
	v_addc_co_u32_e32 v13, vcc, v17, v3, vcc
	global_load_dwordx2 v[32:33], v[12:13], off glc
	s_waitcnt vmcnt(0)
	global_atomic_cmpswap_x2 v[12:13], v5, v[32:35], s[10:11] offset:24 glc
	s_waitcnt vmcnt(0)
	buffer_invl2
	buffer_wbinvl1_vol
	v_cmp_ne_u64_e32 vcc, v[12:13], v[34:35]
	s_and_saveexec_b64 s[18:19], vcc
	s_cbranch_execz .LBB4_203
; %bb.200:                              ;   in Loop: Header=BB4_143 Depth=1
	s_mov_b64 s[20:21], 0
.LBB4_201:                              ;   Parent Loop BB4_143 Depth=1
                                        ; =>  This Inner Loop Header: Depth=2
	s_sleep 1
	global_load_dwordx2 v[16:17], v5, s[10:11] offset:40
	global_load_dwordx2 v[32:33], v5, s[10:11]
	v_pk_mov_b32 v[34:35], v[12:13], v[12:13] op_sel:[0,1]
	s_waitcnt vmcnt(1)
	v_and_b32_e32 v3, v16, v34
	s_waitcnt vmcnt(0)
	v_mad_u64_u32 v[12:13], s[22:23], v3, 24, v[32:33]
	v_and_b32_e32 v1, v17, v35
	v_mov_b32_e32 v4, v13
	v_mad_u64_u32 v[16:17], s[22:23], v1, 24, v[4:5]
	v_mov_b32_e32 v13, v16
	global_load_dwordx2 v[32:33], v[12:13], off glc
	s_waitcnt vmcnt(0)
	global_atomic_cmpswap_x2 v[12:13], v5, v[32:35], s[10:11] offset:24 glc
	s_waitcnt vmcnt(0)
	buffer_invl2
	buffer_wbinvl1_vol
	v_cmp_eq_u64_e32 vcc, v[12:13], v[34:35]
	s_or_b64 s[20:21], vcc, s[20:21]
	s_andn2_b64 exec, exec, s[20:21]
	s_cbranch_execnz .LBB4_201
; %bb.202:                              ;   in Loop: Header=BB4_143 Depth=1
	s_or_b64 exec, exec, s[20:21]
.LBB4_203:                              ;   in Loop: Header=BB4_143 Depth=1
	s_or_b64 exec, exec, s[18:19]
.LBB4_204:                              ;   in Loop: Header=BB4_143 Depth=1
	s_or_b64 exec, exec, s[16:17]
	global_load_dwordx2 v[16:17], v5, s[10:11] offset:40
	global_load_dwordx4 v[32:35], v5, s[10:11]
	v_readfirstlane_b32 s16, v12
	v_readfirstlane_b32 s17, v13
	s_mov_b64 s[18:19], exec
	s_waitcnt vmcnt(1)
	v_readfirstlane_b32 s20, v16
	v_readfirstlane_b32 s21, v17
	s_and_b64 s[20:21], s[16:17], s[20:21]
	s_mul_i32 s22, s21, 24
	s_mul_hi_u32 s23, s20, 24
	s_mul_i32 s24, s20, 24
	s_add_i32 s22, s23, s22
	v_mov_b32_e32 v1, s22
	s_waitcnt vmcnt(0)
	v_add_co_u32_e32 v38, vcc, s24, v32
	v_addc_co_u32_e32 v39, vcc, v33, v1, vcc
	s_and_saveexec_b64 s[22:23], s[4:5]
	s_cbranch_execz .LBB4_206
; %bb.205:                              ;   in Loop: Header=BB4_143 Depth=1
	v_pk_mov_b32 v[12:13], s[18:19], s[18:19] op_sel:[0,1]
	global_store_dwordx4 v[38:39], v[12:15], off offset:8
.LBB4_206:                              ;   in Loop: Header=BB4_143 Depth=1
	s_or_b64 exec, exec, s[22:23]
	s_lshl_b64 s[18:19], s[20:21], 12
	v_mov_b32_e32 v1, s19
	v_add_co_u32_e32 v34, vcc, s18, v34
	v_addc_co_u32_e32 v1, vcc, v35, v1, vcc
	v_or_b32_e32 v3, 0, v11
	v_or_b32_e32 v4, v10, v0
	v_cmp_gt_u64_e64 vcc, s[12:13], 56
	s_lshl_b32 s18, s14, 2
	v_cndmask_b32_e32 v17, v3, v11, vcc
	v_cndmask_b32_e32 v3, v4, v10, vcc
	s_add_i32 s18, s18, 28
	s_and_b32 s18, s18, 0x1e0
	v_and_b32_e32 v3, 0xffffff1f, v3
	v_or_b32_e32 v16, s18, v3
	v_readfirstlane_b32 s18, v34
	v_readfirstlane_b32 s19, v1
	s_nop 4
	global_store_dwordx4 v48, v[16:19], s[18:19]
	global_store_dwordx4 v48, v[20:23], s[18:19] offset:16
	global_store_dwordx4 v48, v[24:27], s[18:19] offset:32
	;; [unrolled: 1-line block ×3, first 2 shown]
	s_and_saveexec_b64 s[18:19], s[4:5]
	s_cbranch_execz .LBB4_214
; %bb.207:                              ;   in Loop: Header=BB4_143 Depth=1
	global_load_dwordx2 v[20:21], v5, s[10:11] offset:32 glc
	global_load_dwordx2 v[10:11], v5, s[10:11] offset:40
	v_mov_b32_e32 v18, s16
	v_mov_b32_e32 v19, s17
	s_waitcnt vmcnt(0)
	v_readfirstlane_b32 s20, v10
	v_readfirstlane_b32 s21, v11
	s_and_b64 s[20:21], s[20:21], s[16:17]
	s_mul_i32 s21, s21, 24
	s_mul_hi_u32 s22, s20, 24
	s_mul_i32 s20, s20, 24
	s_add_i32 s21, s22, s21
	v_mov_b32_e32 v3, s21
	v_add_co_u32_e32 v16, vcc, s20, v32
	v_addc_co_u32_e32 v17, vcc, v33, v3, vcc
	global_store_dwordx2 v[16:17], v[20:21], off
	buffer_wbl2
	s_waitcnt vmcnt(0)
	global_atomic_cmpswap_x2 v[12:13], v5, v[18:21], s[10:11] offset:32 glc
	s_waitcnt vmcnt(0)
	v_cmp_ne_u64_e32 vcc, v[12:13], v[20:21]
	s_and_saveexec_b64 s[20:21], vcc
	s_cbranch_execz .LBB4_210
; %bb.208:                              ;   in Loop: Header=BB4_143 Depth=1
	s_mov_b64 s[22:23], 0
.LBB4_209:                              ;   Parent Loop BB4_143 Depth=1
                                        ; =>  This Inner Loop Header: Depth=2
	s_sleep 1
	global_store_dwordx2 v[16:17], v[12:13], off
	v_mov_b32_e32 v10, s16
	v_mov_b32_e32 v11, s17
	buffer_wbl2
	s_waitcnt vmcnt(0)
	global_atomic_cmpswap_x2 v[10:11], v5, v[10:13], s[10:11] offset:32 glc
	s_waitcnt vmcnt(0)
	v_cmp_eq_u64_e32 vcc, v[10:11], v[12:13]
	s_or_b64 s[22:23], vcc, s[22:23]
	v_pk_mov_b32 v[12:13], v[10:11], v[10:11] op_sel:[0,1]
	s_andn2_b64 exec, exec, s[22:23]
	s_cbranch_execnz .LBB4_209
.LBB4_210:                              ;   in Loop: Header=BB4_143 Depth=1
	s_or_b64 exec, exec, s[20:21]
	global_load_dwordx2 v[10:11], v5, s[10:11] offset:16
	s_mov_b64 s[22:23], exec
	v_mbcnt_lo_u32_b32 v3, s22, 0
	v_mbcnt_hi_u32_b32 v3, s23, v3
	v_cmp_eq_u32_e32 vcc, 0, v3
	s_and_saveexec_b64 s[20:21], vcc
	s_cbranch_execz .LBB4_212
; %bb.211:                              ;   in Loop: Header=BB4_143 Depth=1
	s_bcnt1_i32_b64 s22, s[22:23]
	v_mov_b32_e32 v4, s22
	buffer_wbl2
	s_waitcnt vmcnt(0)
	global_atomic_add_x2 v[10:11], v[4:5], off offset:8
.LBB4_212:                              ;   in Loop: Header=BB4_143 Depth=1
	s_or_b64 exec, exec, s[20:21]
	s_waitcnt vmcnt(0)
	global_load_dwordx2 v[12:13], v[10:11], off offset:16
	s_waitcnt vmcnt(0)
	v_cmp_eq_u64_e32 vcc, 0, v[12:13]
	s_cbranch_vccnz .LBB4_214
; %bb.213:                              ;   in Loop: Header=BB4_143 Depth=1
	global_load_dword v4, v[10:11], off offset:24
	s_waitcnt vmcnt(0)
	v_and_b32_e32 v3, 0xffffff, v4
	v_readfirstlane_b32 m0, v3
	buffer_wbl2
	global_store_dwordx2 v[12:13], v[4:5], off
	s_sendmsg sendmsg(MSG_INTERRUPT)
.LBB4_214:                              ;   in Loop: Header=BB4_143 Depth=1
	s_or_b64 exec, exec, s[18:19]
	v_add_co_u32_e32 v10, vcc, v34, v48
	v_addc_co_u32_e32 v11, vcc, 0, v1, vcc
	s_branch .LBB4_218
.LBB4_215:                              ;   in Loop: Header=BB4_218 Depth=2
	s_or_b64 exec, exec, s[18:19]
	v_readfirstlane_b32 s18, v1
	s_cmp_eq_u32 s18, 0
	s_cbranch_scc1 .LBB4_217
; %bb.216:                              ;   in Loop: Header=BB4_218 Depth=2
	s_sleep 1
	s_cbranch_execnz .LBB4_218
	s_branch .LBB4_220
.LBB4_217:                              ;   in Loop: Header=BB4_143 Depth=1
	s_branch .LBB4_220
.LBB4_218:                              ;   Parent Loop BB4_143 Depth=1
                                        ; =>  This Inner Loop Header: Depth=2
	v_mov_b32_e32 v1, 1
	s_and_saveexec_b64 s[18:19], s[4:5]
	s_cbranch_execz .LBB4_215
; %bb.219:                              ;   in Loop: Header=BB4_218 Depth=2
	global_load_dword v1, v[38:39], off offset:20 glc
	s_waitcnt vmcnt(0)
	buffer_invl2
	buffer_wbinvl1_vol
	v_and_b32_e32 v1, 1, v1
	s_branch .LBB4_215
.LBB4_220:                              ;   in Loop: Header=BB4_143 Depth=1
	global_load_dwordx4 v[10:13], v[10:11], off
	s_and_saveexec_b64 s[18:19], s[4:5]
	s_cbranch_execz .LBB4_142
; %bb.221:                              ;   in Loop: Header=BB4_143 Depth=1
	global_load_dwordx2 v[12:13], v5, s[10:11] offset:40
	global_load_dwordx2 v[20:21], v5, s[10:11] offset:24 glc
	global_load_dwordx2 v[22:23], v5, s[10:11]
	v_mov_b32_e32 v1, s17
	s_waitcnt vmcnt(2)
	v_add_co_u32_e32 v3, vcc, 1, v12
	v_addc_co_u32_e32 v4, vcc, 0, v13, vcc
	v_add_co_u32_e32 v16, vcc, s16, v3
	v_addc_co_u32_e32 v17, vcc, v4, v1, vcc
	v_cmp_eq_u64_e32 vcc, 0, v[16:17]
	v_cndmask_b32_e32 v17, v17, v4, vcc
	v_cndmask_b32_e32 v16, v16, v3, vcc
	v_and_b32_e32 v1, v17, v13
	v_and_b32_e32 v3, v16, v12
	v_mul_lo_u32 v1, v1, 24
	v_mul_hi_u32 v4, v3, 24
	v_mul_lo_u32 v3, v3, 24
	v_add_u32_e32 v1, v4, v1
	s_waitcnt vmcnt(0)
	v_add_co_u32_e32 v12, vcc, v22, v3
	v_addc_co_u32_e32 v13, vcc, v23, v1, vcc
	v_mov_b32_e32 v18, v20
	global_store_dwordx2 v[12:13], v[20:21], off
	v_mov_b32_e32 v19, v21
	buffer_wbl2
	s_waitcnt vmcnt(0)
	global_atomic_cmpswap_x2 v[18:19], v5, v[16:19], s[10:11] offset:24 glc
	s_waitcnt vmcnt(0)
	v_cmp_ne_u64_e32 vcc, v[18:19], v[20:21]
	s_and_b64 exec, exec, vcc
	s_cbranch_execz .LBB4_142
; %bb.222:                              ;   in Loop: Header=BB4_143 Depth=1
	s_mov_b64 s[4:5], 0
.LBB4_223:                              ;   Parent Loop BB4_143 Depth=1
                                        ; =>  This Inner Loop Header: Depth=2
	s_sleep 1
	global_store_dwordx2 v[12:13], v[18:19], off
	buffer_wbl2
	s_waitcnt vmcnt(0)
	global_atomic_cmpswap_x2 v[20:21], v5, v[16:19], s[10:11] offset:24 glc
	s_waitcnt vmcnt(0)
	v_cmp_eq_u64_e32 vcc, v[20:21], v[18:19]
	s_or_b64 s[4:5], vcc, s[4:5]
	v_pk_mov_b32 v[18:19], v[20:21], v[20:21] op_sel:[0,1]
	s_andn2_b64 exec, exec, s[4:5]
	s_cbranch_execnz .LBB4_223
	s_branch .LBB4_142
.LBB4_224:
                                        ; implicit-def: $vgpr10_vgpr11
	s_cbranch_execnz .LBB4_226
	s_branch .LBB4_252
.LBB4_225:
	s_branch .LBB4_252
.LBB4_226:
	v_readfirstlane_b32 s4, v49
	v_cmp_eq_u32_e64 s[4:5], s4, v49
	v_pk_mov_b32 v[0:1], 0, 0
	s_and_saveexec_b64 s[6:7], s[4:5]
	s_cbranch_execz .LBB4_232
; %bb.227:
	v_mov_b32_e32 v3, 0
	global_load_dwordx2 v[12:13], v3, s[10:11] offset:24 glc
	s_waitcnt vmcnt(0)
	buffer_invl2
	buffer_wbinvl1_vol
	global_load_dwordx2 v[0:1], v3, s[10:11] offset:40
	global_load_dwordx2 v[4:5], v3, s[10:11]
	s_waitcnt vmcnt(1)
	v_and_b32_e32 v0, v0, v12
	v_and_b32_e32 v1, v1, v13
	v_mul_lo_u32 v1, v1, 24
	v_mul_hi_u32 v10, v0, 24
	v_mul_lo_u32 v0, v0, 24
	v_add_u32_e32 v1, v10, v1
	s_waitcnt vmcnt(0)
	v_add_co_u32_e32 v0, vcc, v4, v0
	v_addc_co_u32_e32 v1, vcc, v5, v1, vcc
	global_load_dwordx2 v[10:11], v[0:1], off glc
	s_waitcnt vmcnt(0)
	global_atomic_cmpswap_x2 v[0:1], v3, v[10:13], s[10:11] offset:24 glc
	s_waitcnt vmcnt(0)
	buffer_invl2
	buffer_wbinvl1_vol
	v_cmp_ne_u64_e32 vcc, v[0:1], v[12:13]
	s_and_saveexec_b64 s[12:13], vcc
	s_cbranch_execz .LBB4_231
; %bb.228:
	s_mov_b64 s[14:15], 0
.LBB4_229:                              ; =>This Inner Loop Header: Depth=1
	s_sleep 1
	global_load_dwordx2 v[4:5], v3, s[10:11] offset:40
	global_load_dwordx2 v[10:11], v3, s[10:11]
	v_pk_mov_b32 v[12:13], v[0:1], v[0:1] op_sel:[0,1]
	s_waitcnt vmcnt(1)
	v_and_b32_e32 v0, v4, v12
	s_waitcnt vmcnt(0)
	v_mad_u64_u32 v[0:1], s[16:17], v0, 24, v[10:11]
	v_and_b32_e32 v5, v5, v13
	v_mov_b32_e32 v4, v1
	v_mad_u64_u32 v[4:5], s[16:17], v5, 24, v[4:5]
	v_mov_b32_e32 v1, v4
	global_load_dwordx2 v[10:11], v[0:1], off glc
	s_waitcnt vmcnt(0)
	global_atomic_cmpswap_x2 v[0:1], v3, v[10:13], s[10:11] offset:24 glc
	s_waitcnt vmcnt(0)
	buffer_invl2
	buffer_wbinvl1_vol
	v_cmp_eq_u64_e32 vcc, v[0:1], v[12:13]
	s_or_b64 s[14:15], vcc, s[14:15]
	s_andn2_b64 exec, exec, s[14:15]
	s_cbranch_execnz .LBB4_229
; %bb.230:
	s_or_b64 exec, exec, s[14:15]
.LBB4_231:
	s_or_b64 exec, exec, s[12:13]
.LBB4_232:
	s_or_b64 exec, exec, s[6:7]
	s_waitcnt vmcnt(0)
	v_mov_b32_e32 v10, 0
	global_load_dwordx2 v[4:5], v10, s[10:11] offset:40
	global_load_dwordx4 v[12:15], v10, s[10:11]
	v_readfirstlane_b32 s6, v0
	v_readfirstlane_b32 s7, v1
	s_mov_b64 s[12:13], exec
	s_waitcnt vmcnt(1)
	v_readfirstlane_b32 s14, v4
	v_readfirstlane_b32 s15, v5
	s_and_b64 s[14:15], s[6:7], s[14:15]
	s_mul_i32 s16, s15, 24
	s_mul_hi_u32 s17, s14, 24
	s_mul_i32 s18, s14, 24
	s_add_i32 s16, s17, s16
	v_mov_b32_e32 v1, s16
	s_waitcnt vmcnt(0)
	v_add_co_u32_e32 v0, vcc, s18, v12
	v_addc_co_u32_e32 v1, vcc, v13, v1, vcc
	s_and_saveexec_b64 s[16:17], s[4:5]
	s_cbranch_execz .LBB4_234
; %bb.233:
	v_pk_mov_b32 v[16:17], s[12:13], s[12:13] op_sel:[0,1]
	v_mov_b32_e32 v18, 2
	v_mov_b32_e32 v19, 1
	global_store_dwordx4 v[0:1], v[16:19], off offset:8
.LBB4_234:
	s_or_b64 exec, exec, s[16:17]
	s_lshl_b64 s[12:13], s[14:15], 12
	v_mov_b32_e32 v3, s13
	v_add_co_u32_e32 v14, vcc, s12, v14
	s_movk_i32 s12, 0xff1f
	v_addc_co_u32_e32 v3, vcc, v15, v3, vcc
	v_and_or_b32 v8, v8, s12, 32
	s_mov_b32 s12, 0
	v_mov_b32_e32 v11, v10
	v_readfirstlane_b32 s16, v14
	v_readfirstlane_b32 s17, v3
	s_mov_b32 s13, s12
	v_add_co_u32_e32 v4, vcc, v14, v48
	s_mov_b32 s14, s12
	s_mov_b32 s15, s12
	s_nop 0
	global_store_dwordx4 v48, v[8:11], s[16:17]
	v_addc_co_u32_e32 v5, vcc, 0, v3, vcc
	v_pk_mov_b32 v[8:9], s[12:13], s[12:13] op_sel:[0,1]
	v_pk_mov_b32 v[10:11], s[14:15], s[14:15] op_sel:[0,1]
	global_store_dwordx4 v48, v[8:11], s[16:17] offset:16
	global_store_dwordx4 v48, v[8:11], s[16:17] offset:32
	global_store_dwordx4 v48, v[8:11], s[16:17] offset:48
	s_and_saveexec_b64 s[12:13], s[4:5]
	s_cbranch_execz .LBB4_242
; %bb.235:
	v_mov_b32_e32 v3, 0
	global_load_dwordx2 v[16:17], v3, s[10:11] offset:32 glc
	global_load_dwordx2 v[8:9], v3, s[10:11] offset:40
	v_mov_b32_e32 v14, s6
	v_mov_b32_e32 v15, s7
	s_waitcnt vmcnt(0)
	v_readfirstlane_b32 s14, v8
	v_readfirstlane_b32 s15, v9
	s_and_b64 s[14:15], s[14:15], s[6:7]
	s_mul_i32 s15, s15, 24
	s_mul_hi_u32 s16, s14, 24
	s_mul_i32 s14, s14, 24
	s_add_i32 s15, s16, s15
	v_mov_b32_e32 v8, s15
	v_add_co_u32_e32 v12, vcc, s14, v12
	v_addc_co_u32_e32 v13, vcc, v13, v8, vcc
	global_store_dwordx2 v[12:13], v[16:17], off
	buffer_wbl2
	s_waitcnt vmcnt(0)
	global_atomic_cmpswap_x2 v[10:11], v3, v[14:17], s[10:11] offset:32 glc
	s_waitcnt vmcnt(0)
	v_cmp_ne_u64_e32 vcc, v[10:11], v[16:17]
	s_and_saveexec_b64 s[14:15], vcc
	s_cbranch_execz .LBB4_238
; %bb.236:
	s_mov_b64 s[16:17], 0
.LBB4_237:                              ; =>This Inner Loop Header: Depth=1
	s_sleep 1
	global_store_dwordx2 v[12:13], v[10:11], off
	v_mov_b32_e32 v8, s6
	v_mov_b32_e32 v9, s7
	buffer_wbl2
	s_waitcnt vmcnt(0)
	global_atomic_cmpswap_x2 v[8:9], v3, v[8:11], s[10:11] offset:32 glc
	s_waitcnt vmcnt(0)
	v_cmp_eq_u64_e32 vcc, v[8:9], v[10:11]
	s_or_b64 s[16:17], vcc, s[16:17]
	v_pk_mov_b32 v[10:11], v[8:9], v[8:9] op_sel:[0,1]
	s_andn2_b64 exec, exec, s[16:17]
	s_cbranch_execnz .LBB4_237
.LBB4_238:
	s_or_b64 exec, exec, s[14:15]
	v_mov_b32_e32 v11, 0
	global_load_dwordx2 v[8:9], v11, s[10:11] offset:16
	s_mov_b64 s[14:15], exec
	v_mbcnt_lo_u32_b32 v3, s14, 0
	v_mbcnt_hi_u32_b32 v3, s15, v3
	v_cmp_eq_u32_e32 vcc, 0, v3
	s_and_saveexec_b64 s[16:17], vcc
	s_cbranch_execz .LBB4_240
; %bb.239:
	s_bcnt1_i32_b64 s14, s[14:15]
	v_mov_b32_e32 v10, s14
	buffer_wbl2
	s_waitcnt vmcnt(0)
	global_atomic_add_x2 v[8:9], v[10:11], off offset:8
.LBB4_240:
	s_or_b64 exec, exec, s[16:17]
	s_waitcnt vmcnt(0)
	global_load_dwordx2 v[10:11], v[8:9], off offset:16
	s_waitcnt vmcnt(0)
	v_cmp_eq_u64_e32 vcc, 0, v[10:11]
	s_cbranch_vccnz .LBB4_242
; %bb.241:
	global_load_dword v8, v[8:9], off offset:24
	v_mov_b32_e32 v9, 0
	s_waitcnt vmcnt(0)
	v_and_b32_e32 v3, 0xffffff, v8
	v_readfirstlane_b32 m0, v3
	buffer_wbl2
	global_store_dwordx2 v[10:11], v[8:9], off
	s_sendmsg sendmsg(MSG_INTERRUPT)
.LBB4_242:
	s_or_b64 exec, exec, s[12:13]
	s_branch .LBB4_246
.LBB4_243:                              ;   in Loop: Header=BB4_246 Depth=1
	s_or_b64 exec, exec, s[12:13]
	v_readfirstlane_b32 s12, v3
	s_cmp_eq_u32 s12, 0
	s_cbranch_scc1 .LBB4_245
; %bb.244:                              ;   in Loop: Header=BB4_246 Depth=1
	s_sleep 1
	s_cbranch_execnz .LBB4_246
	s_branch .LBB4_248
.LBB4_245:
	s_branch .LBB4_248
.LBB4_246:                              ; =>This Inner Loop Header: Depth=1
	v_mov_b32_e32 v3, 1
	s_and_saveexec_b64 s[12:13], s[4:5]
	s_cbranch_execz .LBB4_243
; %bb.247:                              ;   in Loop: Header=BB4_246 Depth=1
	global_load_dword v3, v[0:1], off offset:20 glc
	s_waitcnt vmcnt(0)
	buffer_invl2
	buffer_wbinvl1_vol
	v_and_b32_e32 v3, 1, v3
	s_branch .LBB4_243
.LBB4_248:
	global_load_dwordx2 v[10:11], v[4:5], off
	s_and_saveexec_b64 s[12:13], s[4:5]
	s_cbranch_execz .LBB4_251
; %bb.249:
	v_mov_b32_e32 v3, 0
	global_load_dwordx2 v[0:1], v3, s[10:11] offset:40
	global_load_dwordx2 v[4:5], v3, s[10:11] offset:24 glc
	global_load_dwordx2 v[8:9], v3, s[10:11]
	v_mov_b32_e32 v13, s7
	s_mov_b64 s[4:5], 0
	s_waitcnt vmcnt(2)
	v_add_co_u32_e32 v15, vcc, 1, v0
	v_addc_co_u32_e32 v16, vcc, 0, v1, vcc
	v_add_co_u32_e32 v12, vcc, s6, v15
	v_addc_co_u32_e32 v13, vcc, v16, v13, vcc
	v_cmp_eq_u64_e32 vcc, 0, v[12:13]
	v_cndmask_b32_e32 v13, v13, v16, vcc
	v_cndmask_b32_e32 v12, v12, v15, vcc
	v_and_b32_e32 v1, v13, v1
	v_and_b32_e32 v0, v12, v0
	v_mul_lo_u32 v1, v1, 24
	v_mul_hi_u32 v15, v0, 24
	v_mul_lo_u32 v0, v0, 24
	v_add_u32_e32 v1, v15, v1
	s_waitcnt vmcnt(0)
	v_add_co_u32_e32 v0, vcc, v8, v0
	v_addc_co_u32_e32 v1, vcc, v9, v1, vcc
	v_mov_b32_e32 v14, v4
	global_store_dwordx2 v[0:1], v[4:5], off
	v_mov_b32_e32 v15, v5
	buffer_wbl2
	s_waitcnt vmcnt(0)
	global_atomic_cmpswap_x2 v[14:15], v3, v[12:15], s[10:11] offset:24 glc
	s_waitcnt vmcnt(0)
	v_cmp_ne_u64_e32 vcc, v[14:15], v[4:5]
	s_and_b64 exec, exec, vcc
	s_cbranch_execz .LBB4_251
.LBB4_250:                              ; =>This Inner Loop Header: Depth=1
	s_sleep 1
	global_store_dwordx2 v[0:1], v[14:15], off
	buffer_wbl2
	s_waitcnt vmcnt(0)
	global_atomic_cmpswap_x2 v[4:5], v3, v[12:15], s[10:11] offset:24 glc
	s_waitcnt vmcnt(0)
	v_cmp_eq_u64_e32 vcc, v[4:5], v[14:15]
	s_or_b64 s[4:5], vcc, s[4:5]
	v_pk_mov_b32 v[14:15], v[4:5], v[4:5] op_sel:[0,1]
	s_andn2_b64 exec, exec, s[4:5]
	s_cbranch_execnz .LBB4_250
.LBB4_251:
	s_or_b64 exec, exec, s[12:13]
.LBB4_252:
	v_readfirstlane_b32 s4, v49
	v_cmp_eq_u32_e64 s[4:5], s4, v49
	v_pk_mov_b32 v[0:1], 0, 0
	s_and_saveexec_b64 s[6:7], s[4:5]
	s_cbranch_execz .LBB4_258
; %bb.253:
	v_mov_b32_e32 v3, 0
	global_load_dwordx2 v[14:15], v3, s[10:11] offset:24 glc
	s_waitcnt vmcnt(0)
	buffer_invl2
	buffer_wbinvl1_vol
	global_load_dwordx2 v[0:1], v3, s[10:11] offset:40
	global_load_dwordx2 v[4:5], v3, s[10:11]
	s_waitcnt vmcnt(1)
	v_and_b32_e32 v0, v0, v14
	v_and_b32_e32 v1, v1, v15
	v_mul_lo_u32 v1, v1, 24
	v_mul_hi_u32 v8, v0, 24
	v_mul_lo_u32 v0, v0, 24
	v_add_u32_e32 v1, v8, v1
	s_waitcnt vmcnt(0)
	v_add_co_u32_e32 v0, vcc, v4, v0
	v_addc_co_u32_e32 v1, vcc, v5, v1, vcc
	global_load_dwordx2 v[12:13], v[0:1], off glc
	s_waitcnt vmcnt(0)
	global_atomic_cmpswap_x2 v[0:1], v3, v[12:15], s[10:11] offset:24 glc
	s_waitcnt vmcnt(0)
	buffer_invl2
	buffer_wbinvl1_vol
	v_cmp_ne_u64_e32 vcc, v[0:1], v[14:15]
	s_and_saveexec_b64 s[12:13], vcc
	s_cbranch_execz .LBB4_257
; %bb.254:
	s_mov_b64 s[14:15], 0
.LBB4_255:                              ; =>This Inner Loop Header: Depth=1
	s_sleep 1
	global_load_dwordx2 v[4:5], v3, s[10:11] offset:40
	global_load_dwordx2 v[8:9], v3, s[10:11]
	v_pk_mov_b32 v[14:15], v[0:1], v[0:1] op_sel:[0,1]
	s_waitcnt vmcnt(1)
	v_and_b32_e32 v0, v4, v14
	s_waitcnt vmcnt(0)
	v_mad_u64_u32 v[0:1], s[16:17], v0, 24, v[8:9]
	v_and_b32_e32 v5, v5, v15
	v_mov_b32_e32 v4, v1
	v_mad_u64_u32 v[4:5], s[16:17], v5, 24, v[4:5]
	v_mov_b32_e32 v1, v4
	global_load_dwordx2 v[12:13], v[0:1], off glc
	s_waitcnt vmcnt(0)
	global_atomic_cmpswap_x2 v[0:1], v3, v[12:15], s[10:11] offset:24 glc
	s_waitcnt vmcnt(0)
	buffer_invl2
	buffer_wbinvl1_vol
	v_cmp_eq_u64_e32 vcc, v[0:1], v[14:15]
	s_or_b64 s[14:15], vcc, s[14:15]
	s_andn2_b64 exec, exec, s[14:15]
	s_cbranch_execnz .LBB4_255
; %bb.256:
	s_or_b64 exec, exec, s[14:15]
.LBB4_257:
	s_or_b64 exec, exec, s[12:13]
.LBB4_258:
	s_or_b64 exec, exec, s[6:7]
	s_waitcnt vmcnt(0)
	v_mov_b32_e32 v13, 0
	global_load_dwordx2 v[4:5], v13, s[10:11] offset:40
	global_load_dwordx4 v[14:17], v13, s[10:11]
	v_readfirstlane_b32 s6, v0
	v_readfirstlane_b32 s7, v1
	s_mov_b64 s[12:13], exec
	s_waitcnt vmcnt(1)
	v_readfirstlane_b32 s14, v4
	v_readfirstlane_b32 s15, v5
	s_and_b64 s[14:15], s[6:7], s[14:15]
	s_mul_i32 s16, s15, 24
	s_mul_hi_u32 s17, s14, 24
	s_mul_i32 s18, s14, 24
	s_add_i32 s16, s17, s16
	v_mov_b32_e32 v0, s16
	s_waitcnt vmcnt(0)
	v_add_co_u32_e32 v4, vcc, s18, v14
	v_addc_co_u32_e32 v5, vcc, v15, v0, vcc
	s_and_saveexec_b64 s[16:17], s[4:5]
	s_cbranch_execz .LBB4_260
; %bb.259:
	v_pk_mov_b32 v[18:19], s[12:13], s[12:13] op_sel:[0,1]
	v_mov_b32_e32 v20, 2
	v_mov_b32_e32 v21, 1
	global_store_dwordx4 v[4:5], v[18:21], off offset:8
.LBB4_260:
	s_or_b64 exec, exec, s[16:17]
	s_lshl_b64 s[12:13], s[14:15], 12
	v_mov_b32_e32 v1, s13
	v_add_co_u32_e32 v0, vcc, s12, v16
	v_addc_co_u32_e32 v1, vcc, v17, v1, vcc
	s_mov_b32 s12, 0
	s_movk_i32 s13, 0xff1f
	v_and_or_b32 v10, v10, s13, 32
	v_add_co_u32_e32 v8, vcc, v0, v48
	s_mov_b32 s13, s12
	v_addc_co_u32_e32 v9, vcc, 0, v1, vcc
	v_mov_b32_e32 v12, v2
	v_readfirstlane_b32 s16, v0
	v_readfirstlane_b32 s17, v1
	s_mov_b32 s14, s12
	s_mov_b32 s15, s12
	v_pk_mov_b32 v[0:1], s[12:13], s[12:13] op_sel:[0,1]
	v_pk_mov_b32 v[2:3], s[14:15], s[14:15] op_sel:[0,1]
	s_nop 0
	global_store_dwordx4 v48, v[10:13], s[16:17]
	global_store_dwordx4 v48, v[0:3], s[16:17] offset:16
	global_store_dwordx4 v48, v[0:3], s[16:17] offset:32
	;; [unrolled: 1-line block ×3, first 2 shown]
	s_and_saveexec_b64 s[12:13], s[4:5]
	s_cbranch_execz .LBB4_268
; %bb.261:
	v_mov_b32_e32 v12, 0
	global_load_dwordx2 v[18:19], v12, s[10:11] offset:32 glc
	global_load_dwordx2 v[0:1], v12, s[10:11] offset:40
	v_mov_b32_e32 v16, s6
	v_mov_b32_e32 v17, s7
	s_waitcnt vmcnt(0)
	v_readfirstlane_b32 s14, v0
	v_readfirstlane_b32 s15, v1
	s_and_b64 s[14:15], s[14:15], s[6:7]
	s_mul_i32 s15, s15, 24
	s_mul_hi_u32 s16, s14, 24
	s_mul_i32 s14, s14, 24
	s_add_i32 s15, s16, s15
	v_mov_b32_e32 v0, s15
	v_add_co_u32_e32 v10, vcc, s14, v14
	v_addc_co_u32_e32 v11, vcc, v15, v0, vcc
	global_store_dwordx2 v[10:11], v[18:19], off
	buffer_wbl2
	s_waitcnt vmcnt(0)
	global_atomic_cmpswap_x2 v[2:3], v12, v[16:19], s[10:11] offset:32 glc
	s_waitcnt vmcnt(0)
	v_cmp_ne_u64_e32 vcc, v[2:3], v[18:19]
	s_and_saveexec_b64 s[14:15], vcc
	s_cbranch_execz .LBB4_264
; %bb.262:
	s_mov_b64 s[16:17], 0
.LBB4_263:                              ; =>This Inner Loop Header: Depth=1
	s_sleep 1
	global_store_dwordx2 v[10:11], v[2:3], off
	v_mov_b32_e32 v0, s6
	v_mov_b32_e32 v1, s7
	buffer_wbl2
	s_waitcnt vmcnt(0)
	global_atomic_cmpswap_x2 v[0:1], v12, v[0:3], s[10:11] offset:32 glc
	s_waitcnt vmcnt(0)
	v_cmp_eq_u64_e32 vcc, v[0:1], v[2:3]
	s_or_b64 s[16:17], vcc, s[16:17]
	v_pk_mov_b32 v[2:3], v[0:1], v[0:1] op_sel:[0,1]
	s_andn2_b64 exec, exec, s[16:17]
	s_cbranch_execnz .LBB4_263
.LBB4_264:
	s_or_b64 exec, exec, s[14:15]
	v_mov_b32_e32 v3, 0
	global_load_dwordx2 v[0:1], v3, s[10:11] offset:16
	s_mov_b64 s[14:15], exec
	v_mbcnt_lo_u32_b32 v2, s14, 0
	v_mbcnt_hi_u32_b32 v2, s15, v2
	v_cmp_eq_u32_e32 vcc, 0, v2
	s_and_saveexec_b64 s[16:17], vcc
	s_cbranch_execz .LBB4_266
; %bb.265:
	s_bcnt1_i32_b64 s14, s[14:15]
	v_mov_b32_e32 v2, s14
	buffer_wbl2
	s_waitcnt vmcnt(0)
	global_atomic_add_x2 v[0:1], v[2:3], off offset:8
.LBB4_266:
	s_or_b64 exec, exec, s[16:17]
	s_waitcnt vmcnt(0)
	global_load_dwordx2 v[2:3], v[0:1], off offset:16
	s_waitcnt vmcnt(0)
	v_cmp_eq_u64_e32 vcc, 0, v[2:3]
	s_cbranch_vccnz .LBB4_268
; %bb.267:
	global_load_dword v0, v[0:1], off offset:24
	v_mov_b32_e32 v1, 0
	buffer_wbl2
	s_waitcnt vmcnt(0)
	global_store_dwordx2 v[2:3], v[0:1], off
	v_and_b32_e32 v0, 0xffffff, v0
	v_readfirstlane_b32 m0, v0
	s_sendmsg sendmsg(MSG_INTERRUPT)
.LBB4_268:
	s_or_b64 exec, exec, s[12:13]
	s_branch .LBB4_272
.LBB4_269:                              ;   in Loop: Header=BB4_272 Depth=1
	s_or_b64 exec, exec, s[12:13]
	v_readfirstlane_b32 s12, v0
	s_cmp_eq_u32 s12, 0
	s_cbranch_scc1 .LBB4_271
; %bb.270:                              ;   in Loop: Header=BB4_272 Depth=1
	s_sleep 1
	s_cbranch_execnz .LBB4_272
	s_branch .LBB4_274
.LBB4_271:
	s_branch .LBB4_274
.LBB4_272:                              ; =>This Inner Loop Header: Depth=1
	v_mov_b32_e32 v0, 1
	s_and_saveexec_b64 s[12:13], s[4:5]
	s_cbranch_execz .LBB4_269
; %bb.273:                              ;   in Loop: Header=BB4_272 Depth=1
	global_load_dword v0, v[4:5], off offset:20 glc
	s_waitcnt vmcnt(0)
	buffer_invl2
	buffer_wbinvl1_vol
	v_and_b32_e32 v0, 1, v0
	s_branch .LBB4_269
.LBB4_274:
	global_load_dwordx2 v[0:1], v[8:9], off
	s_and_saveexec_b64 s[12:13], s[4:5]
	s_cbranch_execz .LBB4_277
; %bb.275:
	v_mov_b32_e32 v10, 0
	global_load_dwordx2 v[8:9], v10, s[10:11] offset:40
	global_load_dwordx2 v[12:13], v10, s[10:11] offset:24 glc
	global_load_dwordx2 v[14:15], v10, s[10:11]
	v_mov_b32_e32 v3, s7
	s_mov_b64 s[4:5], 0
	s_waitcnt vmcnt(2)
	v_add_co_u32_e32 v5, vcc, 1, v8
	v_addc_co_u32_e32 v11, vcc, 0, v9, vcc
	v_add_co_u32_e32 v2, vcc, s6, v5
	v_addc_co_u32_e32 v3, vcc, v11, v3, vcc
	v_cmp_eq_u64_e32 vcc, 0, v[2:3]
	v_cndmask_b32_e32 v3, v3, v11, vcc
	v_cndmask_b32_e32 v2, v2, v5, vcc
	v_and_b32_e32 v5, v3, v9
	v_and_b32_e32 v8, v2, v8
	v_mul_lo_u32 v5, v5, 24
	v_mul_hi_u32 v9, v8, 24
	v_mul_lo_u32 v8, v8, 24
	v_add_u32_e32 v5, v9, v5
	s_waitcnt vmcnt(0)
	v_add_co_u32_e32 v8, vcc, v14, v8
	v_addc_co_u32_e32 v9, vcc, v15, v5, vcc
	v_mov_b32_e32 v4, v12
	global_store_dwordx2 v[8:9], v[12:13], off
	v_mov_b32_e32 v5, v13
	buffer_wbl2
	s_waitcnt vmcnt(0)
	global_atomic_cmpswap_x2 v[4:5], v10, v[2:5], s[10:11] offset:24 glc
	s_waitcnt vmcnt(0)
	v_cmp_ne_u64_e32 vcc, v[4:5], v[12:13]
	s_and_b64 exec, exec, vcc
	s_cbranch_execz .LBB4_277
.LBB4_276:                              ; =>This Inner Loop Header: Depth=1
	s_sleep 1
	global_store_dwordx2 v[8:9], v[4:5], off
	buffer_wbl2
	s_waitcnt vmcnt(0)
	global_atomic_cmpswap_x2 v[12:13], v10, v[2:5], s[10:11] offset:24 glc
	s_waitcnt vmcnt(0)
	v_cmp_eq_u64_e32 vcc, v[12:13], v[4:5]
	s_or_b64 s[4:5], vcc, s[4:5]
	v_pk_mov_b32 v[4:5], v[12:13], v[12:13] op_sel:[0,1]
	s_andn2_b64 exec, exec, s[4:5]
	s_cbranch_execnz .LBB4_276
.LBB4_277:
	s_or_b64 exec, exec, s[12:13]
	s_mov_b64 s[4:5], 0
	v_pk_mov_b32 v[4:5], v[36:37], v[36:37] op_sel:[0,1]
.LBB4_278:                              ; =>This Inner Loop Header: Depth=1
	flat_load_ubyte v8, v[4:5]
	v_add_co_u32_e32 v2, vcc, 1, v4
	v_addc_co_u32_e32 v3, vcc, 0, v5, vcc
	v_pk_mov_b32 v[4:5], v[2:3], v[2:3] op_sel:[0,1]
	s_waitcnt vmcnt(0) lgkmcnt(0)
	v_cmp_eq_u16_e32 vcc, 0, v8
	s_or_b64 s[4:5], vcc, s[4:5]
	s_andn2_b64 exec, exec, s[4:5]
	s_cbranch_execnz .LBB4_278
; %bb.279:
	s_or_b64 exec, exec, s[4:5]
	s_mov_b64 s[6:7], 0
	v_cmp_ne_u64_e32 vcc, 0, v[36:37]
	s_and_saveexec_b64 s[4:5], vcc
	s_xor_b64 s[12:13], exec, s[4:5]
	s_cbranch_execz .LBB4_365
; %bb.280:
	v_sub_u32_e32 v28, v2, v36
	v_ashrrev_i32_e32 v29, 31, v28
	v_and_b32_e32 v30, 2, v0
	v_mov_b32_e32 v33, 0
	v_and_b32_e32 v0, -3, v0
	s_mov_b32 s22, 0
	s_movk_i32 s23, 0xff1f
	v_mov_b32_e32 v4, 2
	v_mov_b32_e32 v5, 1
	s_branch .LBB4_282
.LBB4_281:                              ;   in Loop: Header=BB4_282 Depth=1
	s_or_b64 exec, exec, s[16:17]
	v_sub_co_u32_e32 v28, vcc, v28, v34
	v_subb_co_u32_e32 v29, vcc, v29, v35, vcc
	v_cmp_eq_u64_e32 vcc, 0, v[28:29]
	s_or_b64 s[6:7], vcc, s[6:7]
	v_add_co_u32_e32 v36, vcc, v36, v34
	v_addc_co_u32_e32 v37, vcc, v37, v35, vcc
	s_andn2_b64 exec, exec, s[6:7]
	s_cbranch_execz .LBB4_364
.LBB4_282:                              ; =>This Loop Header: Depth=1
                                        ;     Child Loop BB4_285 Depth 2
                                        ;     Child Loop BB4_293 Depth 2
	;; [unrolled: 1-line block ×11, first 2 shown]
	v_cmp_gt_u64_e32 vcc, 56, v[28:29]
	v_cndmask_b32_e32 v35, 0, v29, vcc
	v_cndmask_b32_e32 v34, 56, v28, vcc
	v_cmp_gt_u64_e32 vcc, 8, v[28:29]
                                        ; implicit-def: $vgpr10_vgpr11
                                        ; implicit-def: $sgpr14
	s_and_saveexec_b64 s[4:5], vcc
	s_xor_b64 s[4:5], exec, s[4:5]
	s_cbranch_execz .LBB4_288
; %bb.283:                              ;   in Loop: Header=BB4_282 Depth=1
	s_mov_b64 s[16:17], 0
	v_cmp_ne_u64_e32 vcc, 0, v[28:29]
	v_pk_mov_b32 v[10:11], 0, 0
	s_and_saveexec_b64 s[14:15], vcc
	s_cbranch_execz .LBB4_287
; %bb.284:                              ;   in Loop: Header=BB4_282 Depth=1
	s_waitcnt vmcnt(0)
	v_lshlrev_b64 v[2:3], 3, v[34:35]
	v_pk_mov_b32 v[10:11], 0, 0
	v_pk_mov_b32 v[8:9], v[36:37], v[36:37] op_sel:[0,1]
	s_mov_b64 s[18:19], 0
.LBB4_285:                              ;   Parent Loop BB4_282 Depth=1
                                        ; =>  This Inner Loop Header: Depth=2
	flat_load_ubyte v3, v[8:9]
	v_mov_b32_e32 v13, s22
	v_add_co_u32_e32 v8, vcc, 1, v8
	v_addc_co_u32_e32 v9, vcc, 0, v9, vcc
	s_waitcnt vmcnt(0) lgkmcnt(0)
	v_and_b32_e32 v12, 0xffff, v3
	v_lshlrev_b64 v[12:13], s18, v[12:13]
	s_add_u32 s18, s18, 8
	s_addc_u32 s19, s19, 0
	v_cmp_eq_u32_e32 vcc, s18, v2
	v_or_b32_e32 v11, v13, v11
	s_or_b64 s[16:17], vcc, s[16:17]
	v_or_b32_e32 v10, v12, v10
	s_andn2_b64 exec, exec, s[16:17]
	s_cbranch_execnz .LBB4_285
; %bb.286:                              ;   in Loop: Header=BB4_282 Depth=1
	s_or_b64 exec, exec, s[16:17]
.LBB4_287:                              ;   in Loop: Header=BB4_282 Depth=1
	s_or_b64 exec, exec, s[14:15]
	s_mov_b32 s14, 0
.LBB4_288:                              ;   in Loop: Header=BB4_282 Depth=1
	s_or_saveexec_b64 s[4:5], s[4:5]
	v_mov_b32_e32 v8, s14
	s_waitcnt vmcnt(0)
	v_pk_mov_b32 v[2:3], v[36:37], v[36:37] op_sel:[0,1]
	s_xor_b64 exec, exec, s[4:5]
	s_cbranch_execz .LBB4_290
; %bb.289:                              ;   in Loop: Header=BB4_282 Depth=1
	flat_load_dwordx2 v[2:3], v[36:37]
	v_add_u32_e32 v8, -8, v34
	s_waitcnt vmcnt(0) lgkmcnt(0)
	v_and_b32_e32 v9, 0xff, v3
	v_and_b32_e32 v11, 0xff00, v3
	;; [unrolled: 1-line block ×4, first 2 shown]
	v_or3_b32 v10, v2, 0, 0
	v_or_b32_e32 v2, v9, v11
	v_or3_b32 v11, v2, v12, v3
	v_add_co_u32_e32 v2, vcc, 8, v36
	v_addc_co_u32_e32 v3, vcc, 0, v37, vcc
.LBB4_290:                              ;   in Loop: Header=BB4_282 Depth=1
	s_or_b64 exec, exec, s[4:5]
	v_cmp_gt_u32_e32 vcc, 8, v8
                                        ; implicit-def: $vgpr12_vgpr13
                                        ; implicit-def: $sgpr14
	s_and_saveexec_b64 s[4:5], vcc
	s_xor_b64 s[4:5], exec, s[4:5]
	s_cbranch_execz .LBB4_296
; %bb.291:                              ;   in Loop: Header=BB4_282 Depth=1
	v_cmp_ne_u32_e32 vcc, 0, v8
	v_pk_mov_b32 v[12:13], 0, 0
	s_and_saveexec_b64 s[14:15], vcc
	s_cbranch_execz .LBB4_295
; %bb.292:                              ;   in Loop: Header=BB4_282 Depth=1
	s_mov_b64 s[16:17], 0
	v_pk_mov_b32 v[12:13], 0, 0
	s_mov_b64 s[18:19], 0
	s_mov_b64 s[20:21], 0
.LBB4_293:                              ;   Parent Loop BB4_282 Depth=1
                                        ; =>  This Inner Loop Header: Depth=2
	v_mov_b32_e32 v9, s21
	v_add_co_u32_e32 v14, vcc, s20, v2
	v_addc_co_u32_e32 v15, vcc, v3, v9, vcc
	flat_load_ubyte v9, v[14:15]
	s_add_u32 s20, s20, 1
	v_mov_b32_e32 v15, s22
	s_addc_u32 s21, s21, 0
	v_cmp_eq_u32_e32 vcc, s20, v8
	s_waitcnt vmcnt(0) lgkmcnt(0)
	v_and_b32_e32 v14, 0xffff, v9
	v_lshlrev_b64 v[14:15], s18, v[14:15]
	s_add_u32 s18, s18, 8
	s_addc_u32 s19, s19, 0
	v_or_b32_e32 v13, v15, v13
	s_or_b64 s[16:17], vcc, s[16:17]
	v_or_b32_e32 v12, v14, v12
	s_andn2_b64 exec, exec, s[16:17]
	s_cbranch_execnz .LBB4_293
; %bb.294:                              ;   in Loop: Header=BB4_282 Depth=1
	s_or_b64 exec, exec, s[16:17]
.LBB4_295:                              ;   in Loop: Header=BB4_282 Depth=1
	s_or_b64 exec, exec, s[14:15]
	s_mov_b32 s14, 0
                                        ; implicit-def: $vgpr8
.LBB4_296:                              ;   in Loop: Header=BB4_282 Depth=1
	s_or_saveexec_b64 s[4:5], s[4:5]
	v_mov_b32_e32 v9, s14
	s_xor_b64 exec, exec, s[4:5]
	s_cbranch_execz .LBB4_298
; %bb.297:                              ;   in Loop: Header=BB4_282 Depth=1
	flat_load_dwordx2 v[12:13], v[2:3]
	v_add_u32_e32 v9, -8, v8
	v_add_co_u32_e32 v2, vcc, 8, v2
	v_addc_co_u32_e32 v3, vcc, 0, v3, vcc
	s_waitcnt vmcnt(0) lgkmcnt(0)
	v_and_b32_e32 v8, 0xff, v13
	v_and_b32_e32 v14, 0xff00, v13
	;; [unrolled: 1-line block ×4, first 2 shown]
	v_or_b32_e32 v8, v8, v14
	v_or3_b32 v12, v12, 0, 0
	v_or3_b32 v13, v8, v15, v13
.LBB4_298:                              ;   in Loop: Header=BB4_282 Depth=1
	s_or_b64 exec, exec, s[4:5]
	v_cmp_gt_u32_e32 vcc, 8, v9
                                        ; implicit-def: $sgpr14
	s_and_saveexec_b64 s[4:5], vcc
	s_xor_b64 s[4:5], exec, s[4:5]
	s_cbranch_execz .LBB4_304
; %bb.299:                              ;   in Loop: Header=BB4_282 Depth=1
	v_cmp_ne_u32_e32 vcc, 0, v9
	v_pk_mov_b32 v[14:15], 0, 0
	s_and_saveexec_b64 s[14:15], vcc
	s_cbranch_execz .LBB4_303
; %bb.300:                              ;   in Loop: Header=BB4_282 Depth=1
	s_mov_b64 s[16:17], 0
	v_pk_mov_b32 v[14:15], 0, 0
	s_mov_b64 s[18:19], 0
	s_mov_b64 s[20:21], 0
.LBB4_301:                              ;   Parent Loop BB4_282 Depth=1
                                        ; =>  This Inner Loop Header: Depth=2
	v_mov_b32_e32 v8, s21
	v_add_co_u32_e32 v16, vcc, s20, v2
	v_addc_co_u32_e32 v17, vcc, v3, v8, vcc
	flat_load_ubyte v8, v[16:17]
	s_add_u32 s20, s20, 1
	v_mov_b32_e32 v17, s22
	s_addc_u32 s21, s21, 0
	v_cmp_eq_u32_e32 vcc, s20, v9
	s_waitcnt vmcnt(0) lgkmcnt(0)
	v_and_b32_e32 v16, 0xffff, v8
	v_lshlrev_b64 v[16:17], s18, v[16:17]
	s_add_u32 s18, s18, 8
	s_addc_u32 s19, s19, 0
	v_or_b32_e32 v15, v17, v15
	s_or_b64 s[16:17], vcc, s[16:17]
	v_or_b32_e32 v14, v16, v14
	s_andn2_b64 exec, exec, s[16:17]
	s_cbranch_execnz .LBB4_301
; %bb.302:                              ;   in Loop: Header=BB4_282 Depth=1
	s_or_b64 exec, exec, s[16:17]
.LBB4_303:                              ;   in Loop: Header=BB4_282 Depth=1
	s_or_b64 exec, exec, s[14:15]
	s_mov_b32 s14, 0
                                        ; implicit-def: $vgpr9
.LBB4_304:                              ;   in Loop: Header=BB4_282 Depth=1
	s_or_saveexec_b64 s[4:5], s[4:5]
	v_mov_b32_e32 v8, s14
	s_xor_b64 exec, exec, s[4:5]
	s_cbranch_execz .LBB4_306
; %bb.305:                              ;   in Loop: Header=BB4_282 Depth=1
	flat_load_dwordx2 v[14:15], v[2:3]
	v_add_u32_e32 v8, -8, v9
	v_add_co_u32_e32 v2, vcc, 8, v2
	v_addc_co_u32_e32 v3, vcc, 0, v3, vcc
	s_waitcnt vmcnt(0) lgkmcnt(0)
	v_and_b32_e32 v9, 0xff, v15
	v_and_b32_e32 v16, 0xff00, v15
	;; [unrolled: 1-line block ×4, first 2 shown]
	v_or_b32_e32 v9, v9, v16
	v_or3_b32 v14, v14, 0, 0
	v_or3_b32 v15, v9, v17, v15
.LBB4_306:                              ;   in Loop: Header=BB4_282 Depth=1
	s_or_b64 exec, exec, s[4:5]
	v_cmp_gt_u32_e32 vcc, 8, v8
                                        ; implicit-def: $vgpr16_vgpr17
                                        ; implicit-def: $sgpr14
	s_and_saveexec_b64 s[4:5], vcc
	s_xor_b64 s[4:5], exec, s[4:5]
	s_cbranch_execz .LBB4_312
; %bb.307:                              ;   in Loop: Header=BB4_282 Depth=1
	v_cmp_ne_u32_e32 vcc, 0, v8
	v_pk_mov_b32 v[16:17], 0, 0
	s_and_saveexec_b64 s[14:15], vcc
	s_cbranch_execz .LBB4_311
; %bb.308:                              ;   in Loop: Header=BB4_282 Depth=1
	s_mov_b64 s[16:17], 0
	v_pk_mov_b32 v[16:17], 0, 0
	s_mov_b64 s[18:19], 0
	s_mov_b64 s[20:21], 0
.LBB4_309:                              ;   Parent Loop BB4_282 Depth=1
                                        ; =>  This Inner Loop Header: Depth=2
	v_mov_b32_e32 v9, s21
	v_add_co_u32_e32 v18, vcc, s20, v2
	v_addc_co_u32_e32 v19, vcc, v3, v9, vcc
	flat_load_ubyte v9, v[18:19]
	s_add_u32 s20, s20, 1
	v_mov_b32_e32 v19, s22
	s_addc_u32 s21, s21, 0
	v_cmp_eq_u32_e32 vcc, s20, v8
	s_waitcnt vmcnt(0) lgkmcnt(0)
	v_and_b32_e32 v18, 0xffff, v9
	v_lshlrev_b64 v[18:19], s18, v[18:19]
	s_add_u32 s18, s18, 8
	s_addc_u32 s19, s19, 0
	v_or_b32_e32 v17, v19, v17
	s_or_b64 s[16:17], vcc, s[16:17]
	v_or_b32_e32 v16, v18, v16
	s_andn2_b64 exec, exec, s[16:17]
	s_cbranch_execnz .LBB4_309
; %bb.310:                              ;   in Loop: Header=BB4_282 Depth=1
	s_or_b64 exec, exec, s[16:17]
.LBB4_311:                              ;   in Loop: Header=BB4_282 Depth=1
	s_or_b64 exec, exec, s[14:15]
	s_mov_b32 s14, 0
                                        ; implicit-def: $vgpr8
.LBB4_312:                              ;   in Loop: Header=BB4_282 Depth=1
	s_or_saveexec_b64 s[4:5], s[4:5]
	v_mov_b32_e32 v9, s14
	s_xor_b64 exec, exec, s[4:5]
	s_cbranch_execz .LBB4_314
; %bb.313:                              ;   in Loop: Header=BB4_282 Depth=1
	flat_load_dwordx2 v[16:17], v[2:3]
	v_add_u32_e32 v9, -8, v8
	v_add_co_u32_e32 v2, vcc, 8, v2
	v_addc_co_u32_e32 v3, vcc, 0, v3, vcc
	s_waitcnt vmcnt(0) lgkmcnt(0)
	v_and_b32_e32 v8, 0xff, v17
	v_and_b32_e32 v18, 0xff00, v17
	;; [unrolled: 1-line block ×4, first 2 shown]
	v_or_b32_e32 v8, v8, v18
	v_or3_b32 v16, v16, 0, 0
	v_or3_b32 v17, v8, v19, v17
.LBB4_314:                              ;   in Loop: Header=BB4_282 Depth=1
	s_or_b64 exec, exec, s[4:5]
	v_cmp_gt_u32_e32 vcc, 8, v9
                                        ; implicit-def: $sgpr14
	s_and_saveexec_b64 s[4:5], vcc
	s_xor_b64 s[4:5], exec, s[4:5]
	s_cbranch_execz .LBB4_320
; %bb.315:                              ;   in Loop: Header=BB4_282 Depth=1
	v_cmp_ne_u32_e32 vcc, 0, v9
	v_pk_mov_b32 v[18:19], 0, 0
	s_and_saveexec_b64 s[14:15], vcc
	s_cbranch_execz .LBB4_319
; %bb.316:                              ;   in Loop: Header=BB4_282 Depth=1
	s_mov_b64 s[16:17], 0
	v_pk_mov_b32 v[18:19], 0, 0
	s_mov_b64 s[18:19], 0
	s_mov_b64 s[20:21], 0
.LBB4_317:                              ;   Parent Loop BB4_282 Depth=1
                                        ; =>  This Inner Loop Header: Depth=2
	v_mov_b32_e32 v8, s21
	v_add_co_u32_e32 v20, vcc, s20, v2
	v_addc_co_u32_e32 v21, vcc, v3, v8, vcc
	flat_load_ubyte v8, v[20:21]
	s_add_u32 s20, s20, 1
	v_mov_b32_e32 v21, s22
	s_addc_u32 s21, s21, 0
	v_cmp_eq_u32_e32 vcc, s20, v9
	s_waitcnt vmcnt(0) lgkmcnt(0)
	v_and_b32_e32 v20, 0xffff, v8
	v_lshlrev_b64 v[20:21], s18, v[20:21]
	s_add_u32 s18, s18, 8
	s_addc_u32 s19, s19, 0
	v_or_b32_e32 v19, v21, v19
	s_or_b64 s[16:17], vcc, s[16:17]
	v_or_b32_e32 v18, v20, v18
	s_andn2_b64 exec, exec, s[16:17]
	s_cbranch_execnz .LBB4_317
; %bb.318:                              ;   in Loop: Header=BB4_282 Depth=1
	s_or_b64 exec, exec, s[16:17]
.LBB4_319:                              ;   in Loop: Header=BB4_282 Depth=1
	s_or_b64 exec, exec, s[14:15]
	s_mov_b32 s14, 0
                                        ; implicit-def: $vgpr9
.LBB4_320:                              ;   in Loop: Header=BB4_282 Depth=1
	s_or_saveexec_b64 s[4:5], s[4:5]
	v_mov_b32_e32 v8, s14
	s_xor_b64 exec, exec, s[4:5]
	s_cbranch_execz .LBB4_322
; %bb.321:                              ;   in Loop: Header=BB4_282 Depth=1
	flat_load_dwordx2 v[18:19], v[2:3]
	v_add_u32_e32 v8, -8, v9
	v_add_co_u32_e32 v2, vcc, 8, v2
	v_addc_co_u32_e32 v3, vcc, 0, v3, vcc
	s_waitcnt vmcnt(0) lgkmcnt(0)
	v_and_b32_e32 v9, 0xff, v19
	v_and_b32_e32 v20, 0xff00, v19
	;; [unrolled: 1-line block ×4, first 2 shown]
	v_or_b32_e32 v9, v9, v20
	v_or3_b32 v18, v18, 0, 0
	v_or3_b32 v19, v9, v21, v19
.LBB4_322:                              ;   in Loop: Header=BB4_282 Depth=1
	s_or_b64 exec, exec, s[4:5]
	v_cmp_gt_u32_e32 vcc, 8, v8
                                        ; implicit-def: $vgpr20_vgpr21
                                        ; implicit-def: $sgpr14
	s_and_saveexec_b64 s[4:5], vcc
	s_xor_b64 s[4:5], exec, s[4:5]
	s_cbranch_execz .LBB4_328
; %bb.323:                              ;   in Loop: Header=BB4_282 Depth=1
	v_cmp_ne_u32_e32 vcc, 0, v8
	v_pk_mov_b32 v[20:21], 0, 0
	s_and_saveexec_b64 s[14:15], vcc
	s_cbranch_execz .LBB4_327
; %bb.324:                              ;   in Loop: Header=BB4_282 Depth=1
	s_mov_b64 s[16:17], 0
	v_pk_mov_b32 v[20:21], 0, 0
	s_mov_b64 s[18:19], 0
	s_mov_b64 s[20:21], 0
.LBB4_325:                              ;   Parent Loop BB4_282 Depth=1
                                        ; =>  This Inner Loop Header: Depth=2
	v_mov_b32_e32 v9, s21
	v_add_co_u32_e32 v22, vcc, s20, v2
	v_addc_co_u32_e32 v23, vcc, v3, v9, vcc
	flat_load_ubyte v9, v[22:23]
	s_add_u32 s20, s20, 1
	v_mov_b32_e32 v23, s22
	s_addc_u32 s21, s21, 0
	v_cmp_eq_u32_e32 vcc, s20, v8
	s_waitcnt vmcnt(0) lgkmcnt(0)
	v_and_b32_e32 v22, 0xffff, v9
	v_lshlrev_b64 v[22:23], s18, v[22:23]
	s_add_u32 s18, s18, 8
	s_addc_u32 s19, s19, 0
	v_or_b32_e32 v21, v23, v21
	s_or_b64 s[16:17], vcc, s[16:17]
	v_or_b32_e32 v20, v22, v20
	s_andn2_b64 exec, exec, s[16:17]
	s_cbranch_execnz .LBB4_325
; %bb.326:                              ;   in Loop: Header=BB4_282 Depth=1
	s_or_b64 exec, exec, s[16:17]
.LBB4_327:                              ;   in Loop: Header=BB4_282 Depth=1
	s_or_b64 exec, exec, s[14:15]
	s_mov_b32 s14, 0
                                        ; implicit-def: $vgpr8
.LBB4_328:                              ;   in Loop: Header=BB4_282 Depth=1
	s_or_saveexec_b64 s[4:5], s[4:5]
	v_mov_b32_e32 v9, s14
	s_xor_b64 exec, exec, s[4:5]
	s_cbranch_execz .LBB4_330
; %bb.329:                              ;   in Loop: Header=BB4_282 Depth=1
	flat_load_dwordx2 v[20:21], v[2:3]
	v_add_u32_e32 v9, -8, v8
	v_add_co_u32_e32 v2, vcc, 8, v2
	v_addc_co_u32_e32 v3, vcc, 0, v3, vcc
	s_waitcnt vmcnt(0) lgkmcnt(0)
	v_and_b32_e32 v8, 0xff, v21
	v_and_b32_e32 v22, 0xff00, v21
	;; [unrolled: 1-line block ×4, first 2 shown]
	v_or_b32_e32 v8, v8, v22
	v_or3_b32 v20, v20, 0, 0
	v_or3_b32 v21, v8, v23, v21
.LBB4_330:                              ;   in Loop: Header=BB4_282 Depth=1
	s_or_b64 exec, exec, s[4:5]
	v_cmp_gt_u32_e32 vcc, 8, v9
	s_and_saveexec_b64 s[4:5], vcc
	s_xor_b64 s[4:5], exec, s[4:5]
	s_cbranch_execz .LBB4_336
; %bb.331:                              ;   in Loop: Header=BB4_282 Depth=1
	v_cmp_ne_u32_e32 vcc, 0, v9
	v_pk_mov_b32 v[22:23], 0, 0
	s_and_saveexec_b64 s[14:15], vcc
	s_cbranch_execz .LBB4_335
; %bb.332:                              ;   in Loop: Header=BB4_282 Depth=1
	s_mov_b64 s[16:17], 0
	v_pk_mov_b32 v[22:23], 0, 0
	s_mov_b64 s[18:19], 0
.LBB4_333:                              ;   Parent Loop BB4_282 Depth=1
                                        ; =>  This Inner Loop Header: Depth=2
	flat_load_ubyte v8, v[2:3]
	v_mov_b32_e32 v25, s22
	v_add_co_u32_e32 v2, vcc, 1, v2
	v_add_u32_e32 v9, -1, v9
	v_addc_co_u32_e32 v3, vcc, 0, v3, vcc
	v_cmp_eq_u32_e32 vcc, 0, v9
	s_waitcnt vmcnt(0) lgkmcnt(0)
	v_and_b32_e32 v24, 0xffff, v8
	v_lshlrev_b64 v[24:25], s18, v[24:25]
	s_add_u32 s18, s18, 8
	s_addc_u32 s19, s19, 0
	v_or_b32_e32 v23, v25, v23
	s_or_b64 s[16:17], vcc, s[16:17]
	v_or_b32_e32 v22, v24, v22
	s_andn2_b64 exec, exec, s[16:17]
	s_cbranch_execnz .LBB4_333
; %bb.334:                              ;   in Loop: Header=BB4_282 Depth=1
	s_or_b64 exec, exec, s[16:17]
.LBB4_335:                              ;   in Loop: Header=BB4_282 Depth=1
	s_or_b64 exec, exec, s[14:15]
                                        ; implicit-def: $vgpr2_vgpr3
.LBB4_336:                              ;   in Loop: Header=BB4_282 Depth=1
	s_andn2_saveexec_b64 s[4:5], s[4:5]
	s_cbranch_execz .LBB4_338
; %bb.337:                              ;   in Loop: Header=BB4_282 Depth=1
	flat_load_dwordx2 v[2:3], v[2:3]
	s_waitcnt vmcnt(0) lgkmcnt(0)
	v_and_b32_e32 v8, 0xff, v3
	v_and_b32_e32 v9, 0xff00, v3
	;; [unrolled: 1-line block ×4, first 2 shown]
	v_or_b32_e32 v8, v8, v9
	v_or3_b32 v23, v8, v22, v3
	v_or3_b32 v22, v2, 0, 0
.LBB4_338:                              ;   in Loop: Header=BB4_282 Depth=1
	s_or_b64 exec, exec, s[4:5]
	v_readfirstlane_b32 s4, v49
	v_cmp_eq_u32_e64 s[4:5], s4, v49
	v_pk_mov_b32 v[2:3], 0, 0
	s_and_saveexec_b64 s[14:15], s[4:5]
	s_cbranch_execz .LBB4_344
; %bb.339:                              ;   in Loop: Header=BB4_282 Depth=1
	global_load_dwordx2 v[26:27], v33, s[10:11] offset:24 glc
	s_waitcnt vmcnt(0)
	buffer_invl2
	buffer_wbinvl1_vol
	global_load_dwordx2 v[2:3], v33, s[10:11] offset:40
	global_load_dwordx2 v[8:9], v33, s[10:11]
	s_waitcnt vmcnt(1)
	v_and_b32_e32 v2, v2, v26
	v_and_b32_e32 v3, v3, v27
	v_mul_lo_u32 v3, v3, 24
	v_mul_hi_u32 v24, v2, 24
	v_mul_lo_u32 v2, v2, 24
	v_add_u32_e32 v3, v24, v3
	s_waitcnt vmcnt(0)
	v_add_co_u32_e32 v2, vcc, v8, v2
	v_addc_co_u32_e32 v3, vcc, v9, v3, vcc
	global_load_dwordx2 v[24:25], v[2:3], off glc
	s_waitcnt vmcnt(0)
	global_atomic_cmpswap_x2 v[2:3], v33, v[24:27], s[10:11] offset:24 glc
	s_waitcnt vmcnt(0)
	buffer_invl2
	buffer_wbinvl1_vol
	v_cmp_ne_u64_e32 vcc, v[2:3], v[26:27]
	s_and_saveexec_b64 s[16:17], vcc
	s_cbranch_execz .LBB4_343
; %bb.340:                              ;   in Loop: Header=BB4_282 Depth=1
	s_mov_b64 s[18:19], 0
.LBB4_341:                              ;   Parent Loop BB4_282 Depth=1
                                        ; =>  This Inner Loop Header: Depth=2
	s_sleep 1
	global_load_dwordx2 v[8:9], v33, s[10:11] offset:40
	global_load_dwordx2 v[24:25], v33, s[10:11]
	v_pk_mov_b32 v[26:27], v[2:3], v[2:3] op_sel:[0,1]
	s_waitcnt vmcnt(1)
	v_and_b32_e32 v2, v8, v26
	s_waitcnt vmcnt(0)
	v_mad_u64_u32 v[2:3], s[20:21], v2, 24, v[24:25]
	v_and_b32_e32 v9, v9, v27
	v_mov_b32_e32 v8, v3
	v_mad_u64_u32 v[8:9], s[20:21], v9, 24, v[8:9]
	v_mov_b32_e32 v3, v8
	global_load_dwordx2 v[24:25], v[2:3], off glc
	s_waitcnt vmcnt(0)
	global_atomic_cmpswap_x2 v[2:3], v33, v[24:27], s[10:11] offset:24 glc
	s_waitcnt vmcnt(0)
	buffer_invl2
	buffer_wbinvl1_vol
	v_cmp_eq_u64_e32 vcc, v[2:3], v[26:27]
	s_or_b64 s[18:19], vcc, s[18:19]
	s_andn2_b64 exec, exec, s[18:19]
	s_cbranch_execnz .LBB4_341
; %bb.342:                              ;   in Loop: Header=BB4_282 Depth=1
	s_or_b64 exec, exec, s[18:19]
.LBB4_343:                              ;   in Loop: Header=BB4_282 Depth=1
	s_or_b64 exec, exec, s[16:17]
.LBB4_344:                              ;   in Loop: Header=BB4_282 Depth=1
	s_or_b64 exec, exec, s[14:15]
	global_load_dwordx2 v[8:9], v33, s[10:11] offset:40
	global_load_dwordx4 v[24:27], v33, s[10:11]
	v_readfirstlane_b32 s14, v2
	v_readfirstlane_b32 s15, v3
	s_mov_b64 s[16:17], exec
	s_waitcnt vmcnt(1)
	v_readfirstlane_b32 s18, v8
	v_readfirstlane_b32 s19, v9
	s_and_b64 s[18:19], s[14:15], s[18:19]
	s_mul_i32 s20, s19, 24
	s_mul_hi_u32 s21, s18, 24
	s_mul_i32 s24, s18, 24
	s_add_i32 s20, s21, s20
	v_mov_b32_e32 v2, s20
	s_waitcnt vmcnt(0)
	v_add_co_u32_e32 v38, vcc, s24, v24
	v_addc_co_u32_e32 v39, vcc, v25, v2, vcc
	s_and_saveexec_b64 s[20:21], s[4:5]
	s_cbranch_execz .LBB4_346
; %bb.345:                              ;   in Loop: Header=BB4_282 Depth=1
	v_pk_mov_b32 v[2:3], s[16:17], s[16:17] op_sel:[0,1]
	global_store_dwordx4 v[38:39], v[2:5], off offset:8
.LBB4_346:                              ;   in Loop: Header=BB4_282 Depth=1
	s_or_b64 exec, exec, s[20:21]
	s_lshl_b64 s[16:17], s[18:19], 12
	v_mov_b32_e32 v2, s17
	v_add_co_u32_e32 v26, vcc, s16, v26
	v_addc_co_u32_e32 v27, vcc, v27, v2, vcc
	v_or_b32_e32 v2, 0, v1
	v_cmp_lt_u64_e32 vcc, 56, v[28:29]
	v_or_b32_e32 v3, v0, v30
	v_cndmask_b32_e32 v9, v2, v1, vcc
	v_lshl_add_u32 v1, v34, 2, 28
	v_cndmask_b32_e32 v0, v3, v0, vcc
	v_and_b32_e32 v1, 0x1e0, v1
	v_and_or_b32 v8, v0, s23, v1
	v_readfirstlane_b32 s16, v26
	v_readfirstlane_b32 s17, v27
	s_nop 4
	global_store_dwordx4 v48, v[8:11], s[16:17]
	global_store_dwordx4 v48, v[12:15], s[16:17] offset:16
	global_store_dwordx4 v48, v[16:19], s[16:17] offset:32
	;; [unrolled: 1-line block ×3, first 2 shown]
	s_and_saveexec_b64 s[16:17], s[4:5]
	s_cbranch_execz .LBB4_354
; %bb.347:                              ;   in Loop: Header=BB4_282 Depth=1
	global_load_dwordx2 v[12:13], v33, s[10:11] offset:32 glc
	global_load_dwordx2 v[0:1], v33, s[10:11] offset:40
	v_mov_b32_e32 v10, s14
	v_mov_b32_e32 v11, s15
	s_waitcnt vmcnt(0)
	v_readfirstlane_b32 s18, v0
	v_readfirstlane_b32 s19, v1
	s_and_b64 s[18:19], s[18:19], s[14:15]
	s_mul_i32 s19, s19, 24
	s_mul_hi_u32 s20, s18, 24
	s_mul_i32 s18, s18, 24
	s_add_i32 s19, s20, s19
	v_mov_b32_e32 v0, s19
	v_add_co_u32_e32 v8, vcc, s18, v24
	v_addc_co_u32_e32 v9, vcc, v25, v0, vcc
	global_store_dwordx2 v[8:9], v[12:13], off
	buffer_wbl2
	s_waitcnt vmcnt(0)
	global_atomic_cmpswap_x2 v[2:3], v33, v[10:13], s[10:11] offset:32 glc
	s_waitcnt vmcnt(0)
	v_cmp_ne_u64_e32 vcc, v[2:3], v[12:13]
	s_and_saveexec_b64 s[18:19], vcc
	s_cbranch_execz .LBB4_350
; %bb.348:                              ;   in Loop: Header=BB4_282 Depth=1
	s_mov_b64 s[20:21], 0
.LBB4_349:                              ;   Parent Loop BB4_282 Depth=1
                                        ; =>  This Inner Loop Header: Depth=2
	s_sleep 1
	global_store_dwordx2 v[8:9], v[2:3], off
	v_mov_b32_e32 v0, s14
	v_mov_b32_e32 v1, s15
	buffer_wbl2
	s_waitcnt vmcnt(0)
	global_atomic_cmpswap_x2 v[0:1], v33, v[0:3], s[10:11] offset:32 glc
	s_waitcnt vmcnt(0)
	v_cmp_eq_u64_e32 vcc, v[0:1], v[2:3]
	s_or_b64 s[20:21], vcc, s[20:21]
	v_pk_mov_b32 v[2:3], v[0:1], v[0:1] op_sel:[0,1]
	s_andn2_b64 exec, exec, s[20:21]
	s_cbranch_execnz .LBB4_349
.LBB4_350:                              ;   in Loop: Header=BB4_282 Depth=1
	s_or_b64 exec, exec, s[18:19]
	global_load_dwordx2 v[0:1], v33, s[10:11] offset:16
	s_mov_b64 s[20:21], exec
	v_mbcnt_lo_u32_b32 v2, s20, 0
	v_mbcnt_hi_u32_b32 v2, s21, v2
	v_cmp_eq_u32_e32 vcc, 0, v2
	s_and_saveexec_b64 s[18:19], vcc
	s_cbranch_execz .LBB4_352
; %bb.351:                              ;   in Loop: Header=BB4_282 Depth=1
	s_bcnt1_i32_b64 s20, s[20:21]
	v_mov_b32_e32 v32, s20
	buffer_wbl2
	s_waitcnt vmcnt(0)
	global_atomic_add_x2 v[0:1], v[32:33], off offset:8
.LBB4_352:                              ;   in Loop: Header=BB4_282 Depth=1
	s_or_b64 exec, exec, s[18:19]
	s_waitcnt vmcnt(0)
	global_load_dwordx2 v[2:3], v[0:1], off offset:16
	s_waitcnt vmcnt(0)
	v_cmp_eq_u64_e32 vcc, 0, v[2:3]
	s_cbranch_vccnz .LBB4_354
; %bb.353:                              ;   in Loop: Header=BB4_282 Depth=1
	global_load_dword v32, v[0:1], off offset:24
	s_waitcnt vmcnt(0)
	v_and_b32_e32 v0, 0xffffff, v32
	v_readfirstlane_b32 m0, v0
	buffer_wbl2
	global_store_dwordx2 v[2:3], v[32:33], off
	s_sendmsg sendmsg(MSG_INTERRUPT)
.LBB4_354:                              ;   in Loop: Header=BB4_282 Depth=1
	s_or_b64 exec, exec, s[16:17]
	v_add_co_u32_e32 v0, vcc, v26, v48
	v_addc_co_u32_e32 v1, vcc, 0, v27, vcc
	s_branch .LBB4_358
.LBB4_355:                              ;   in Loop: Header=BB4_358 Depth=2
	s_or_b64 exec, exec, s[16:17]
	v_readfirstlane_b32 s16, v2
	s_cmp_eq_u32 s16, 0
	s_cbranch_scc1 .LBB4_357
; %bb.356:                              ;   in Loop: Header=BB4_358 Depth=2
	s_sleep 1
	s_cbranch_execnz .LBB4_358
	s_branch .LBB4_360
.LBB4_357:                              ;   in Loop: Header=BB4_282 Depth=1
	s_branch .LBB4_360
.LBB4_358:                              ;   Parent Loop BB4_282 Depth=1
                                        ; =>  This Inner Loop Header: Depth=2
	v_mov_b32_e32 v2, 1
	s_and_saveexec_b64 s[16:17], s[4:5]
	s_cbranch_execz .LBB4_355
; %bb.359:                              ;   in Loop: Header=BB4_358 Depth=2
	global_load_dword v2, v[38:39], off offset:20 glc
	s_waitcnt vmcnt(0)
	buffer_invl2
	buffer_wbinvl1_vol
	v_and_b32_e32 v2, 1, v2
	s_branch .LBB4_355
.LBB4_360:                              ;   in Loop: Header=BB4_282 Depth=1
	global_load_dwordx4 v[0:3], v[0:1], off
	s_and_saveexec_b64 s[16:17], s[4:5]
	s_cbranch_execz .LBB4_281
; %bb.361:                              ;   in Loop: Header=BB4_282 Depth=1
	global_load_dwordx2 v[2:3], v33, s[10:11] offset:40
	global_load_dwordx2 v[12:13], v33, s[10:11] offset:24 glc
	global_load_dwordx2 v[14:15], v33, s[10:11]
	v_mov_b32_e32 v9, s15
	s_waitcnt vmcnt(2)
	v_add_co_u32_e32 v11, vcc, 1, v2
	v_addc_co_u32_e32 v16, vcc, 0, v3, vcc
	v_add_co_u32_e32 v8, vcc, s14, v11
	v_addc_co_u32_e32 v9, vcc, v16, v9, vcc
	v_cmp_eq_u64_e32 vcc, 0, v[8:9]
	v_cndmask_b32_e32 v9, v9, v16, vcc
	v_cndmask_b32_e32 v8, v8, v11, vcc
	v_and_b32_e32 v3, v9, v3
	v_and_b32_e32 v2, v8, v2
	v_mul_lo_u32 v3, v3, 24
	v_mul_hi_u32 v11, v2, 24
	v_mul_lo_u32 v2, v2, 24
	v_add_u32_e32 v3, v11, v3
	s_waitcnt vmcnt(0)
	v_add_co_u32_e32 v2, vcc, v14, v2
	v_addc_co_u32_e32 v3, vcc, v15, v3, vcc
	v_mov_b32_e32 v10, v12
	global_store_dwordx2 v[2:3], v[12:13], off
	v_mov_b32_e32 v11, v13
	buffer_wbl2
	s_waitcnt vmcnt(0)
	global_atomic_cmpswap_x2 v[10:11], v33, v[8:11], s[10:11] offset:24 glc
	s_waitcnt vmcnt(0)
	v_cmp_ne_u64_e32 vcc, v[10:11], v[12:13]
	s_and_b64 exec, exec, vcc
	s_cbranch_execz .LBB4_281
; %bb.362:                              ;   in Loop: Header=BB4_282 Depth=1
	s_mov_b64 s[4:5], 0
.LBB4_363:                              ;   Parent Loop BB4_282 Depth=1
                                        ; =>  This Inner Loop Header: Depth=2
	s_sleep 1
	global_store_dwordx2 v[2:3], v[10:11], off
	buffer_wbl2
	s_waitcnt vmcnt(0)
	global_atomic_cmpswap_x2 v[12:13], v33, v[8:11], s[10:11] offset:24 glc
	s_waitcnt vmcnt(0)
	v_cmp_eq_u64_e32 vcc, v[12:13], v[10:11]
	s_or_b64 s[4:5], vcc, s[4:5]
	v_pk_mov_b32 v[10:11], v[12:13], v[12:13] op_sel:[0,1]
	s_andn2_b64 exec, exec, s[4:5]
	s_cbranch_execnz .LBB4_363
	s_branch .LBB4_281
.LBB4_364:
	s_or_b64 exec, exec, s[6:7]
                                        ; implicit-def: $vgpr48
                                        ; implicit-def: $vgpr49
.LBB4_365:
	s_andn2_saveexec_b64 s[6:7], s[12:13]
	s_cbranch_execz .LBB4_392
; %bb.366:
	v_readfirstlane_b32 s4, v49
	v_cmp_eq_u32_e64 s[4:5], s4, v49
	v_pk_mov_b32 v[4:5], 0, 0
	s_and_saveexec_b64 s[12:13], s[4:5]
	s_cbranch_execz .LBB4_372
; %bb.367:
	s_waitcnt vmcnt(0)
	v_mov_b32_e32 v2, 0
	global_load_dwordx2 v[10:11], v2, s[10:11] offset:24 glc
	s_waitcnt vmcnt(0)
	buffer_invl2
	buffer_wbinvl1_vol
	global_load_dwordx2 v[4:5], v2, s[10:11] offset:40
	global_load_dwordx2 v[8:9], v2, s[10:11]
	s_waitcnt vmcnt(1)
	v_and_b32_e32 v3, v4, v10
	v_and_b32_e32 v4, v5, v11
	v_mul_lo_u32 v4, v4, 24
	v_mul_hi_u32 v5, v3, 24
	v_mul_lo_u32 v3, v3, 24
	v_add_u32_e32 v5, v5, v4
	s_waitcnt vmcnt(0)
	v_add_co_u32_e32 v4, vcc, v8, v3
	v_addc_co_u32_e32 v5, vcc, v9, v5, vcc
	global_load_dwordx2 v[8:9], v[4:5], off glc
	s_waitcnt vmcnt(0)
	global_atomic_cmpswap_x2 v[4:5], v2, v[8:11], s[10:11] offset:24 glc
	s_waitcnt vmcnt(0)
	buffer_invl2
	buffer_wbinvl1_vol
	v_cmp_ne_u64_e32 vcc, v[4:5], v[10:11]
	s_and_saveexec_b64 s[14:15], vcc
	s_cbranch_execz .LBB4_371
; %bb.368:
	s_mov_b64 s[16:17], 0
.LBB4_369:                              ; =>This Inner Loop Header: Depth=1
	s_sleep 1
	global_load_dwordx2 v[8:9], v2, s[10:11] offset:40
	global_load_dwordx2 v[12:13], v2, s[10:11]
	v_pk_mov_b32 v[10:11], v[4:5], v[4:5] op_sel:[0,1]
	s_waitcnt vmcnt(1)
	v_and_b32_e32 v4, v8, v10
	s_waitcnt vmcnt(0)
	v_mad_u64_u32 v[4:5], s[18:19], v4, 24, v[12:13]
	v_and_b32_e32 v3, v9, v11
	v_mov_b32_e32 v8, v5
	v_mad_u64_u32 v[8:9], s[18:19], v3, 24, v[8:9]
	v_mov_b32_e32 v5, v8
	global_load_dwordx2 v[8:9], v[4:5], off glc
	s_waitcnt vmcnt(0)
	global_atomic_cmpswap_x2 v[4:5], v2, v[8:11], s[10:11] offset:24 glc
	s_waitcnt vmcnt(0)
	buffer_invl2
	buffer_wbinvl1_vol
	v_cmp_eq_u64_e32 vcc, v[4:5], v[10:11]
	s_or_b64 s[16:17], vcc, s[16:17]
	s_andn2_b64 exec, exec, s[16:17]
	s_cbranch_execnz .LBB4_369
; %bb.370:
	s_or_b64 exec, exec, s[16:17]
.LBB4_371:
	s_or_b64 exec, exec, s[14:15]
.LBB4_372:
	s_or_b64 exec, exec, s[12:13]
	s_waitcnt vmcnt(0)
	v_mov_b32_e32 v2, 0
	global_load_dwordx2 v[12:13], v2, s[10:11] offset:40
	global_load_dwordx4 v[8:11], v2, s[10:11]
	v_readfirstlane_b32 s12, v4
	v_readfirstlane_b32 s13, v5
	s_mov_b64 s[14:15], exec
	s_waitcnt vmcnt(1)
	v_readfirstlane_b32 s16, v12
	v_readfirstlane_b32 s17, v13
	s_and_b64 s[16:17], s[12:13], s[16:17]
	s_mul_i32 s18, s17, 24
	s_mul_hi_u32 s19, s16, 24
	s_mul_i32 s20, s16, 24
	s_add_i32 s18, s19, s18
	v_mov_b32_e32 v3, s18
	s_waitcnt vmcnt(0)
	v_add_co_u32_e32 v4, vcc, s20, v8
	v_addc_co_u32_e32 v5, vcc, v9, v3, vcc
	s_and_saveexec_b64 s[18:19], s[4:5]
	s_cbranch_execz .LBB4_374
; %bb.373:
	v_pk_mov_b32 v[12:13], s[14:15], s[14:15] op_sel:[0,1]
	v_mov_b32_e32 v14, 2
	v_mov_b32_e32 v15, 1
	global_store_dwordx4 v[4:5], v[12:15], off offset:8
.LBB4_374:
	s_or_b64 exec, exec, s[18:19]
	s_lshl_b64 s[14:15], s[16:17], 12
	v_mov_b32_e32 v3, s15
	v_add_co_u32_e32 v12, vcc, s14, v10
	v_addc_co_u32_e32 v13, vcc, v11, v3, vcc
	s_movk_i32 s14, 0xff1f
	s_mov_b32 s16, 0
	v_and_or_b32 v0, v0, s14, 32
	v_mov_b32_e32 v3, v2
	v_readfirstlane_b32 s14, v12
	v_readfirstlane_b32 s15, v13
	s_mov_b32 s17, s16
	v_add_co_u32_e32 v10, vcc, v12, v48
	s_mov_b32 s18, s16
	s_mov_b32 s19, s16
	s_nop 0
	global_store_dwordx4 v48, v[0:3], s[14:15]
	v_addc_co_u32_e32 v11, vcc, 0, v13, vcc
	v_pk_mov_b32 v[0:1], s[16:17], s[16:17] op_sel:[0,1]
	v_pk_mov_b32 v[2:3], s[18:19], s[18:19] op_sel:[0,1]
	global_store_dwordx4 v48, v[0:3], s[14:15] offset:16
	global_store_dwordx4 v48, v[0:3], s[14:15] offset:32
	;; [unrolled: 1-line block ×3, first 2 shown]
	s_and_saveexec_b64 s[14:15], s[4:5]
	s_cbranch_execz .LBB4_382
; %bb.375:
	v_mov_b32_e32 v12, 0
	global_load_dwordx2 v[16:17], v12, s[10:11] offset:32 glc
	global_load_dwordx2 v[0:1], v12, s[10:11] offset:40
	v_mov_b32_e32 v14, s12
	v_mov_b32_e32 v15, s13
	s_waitcnt vmcnt(0)
	v_readfirstlane_b32 s16, v0
	v_readfirstlane_b32 s17, v1
	s_and_b64 s[16:17], s[16:17], s[12:13]
	s_mul_i32 s17, s17, 24
	s_mul_hi_u32 s18, s16, 24
	s_mul_i32 s16, s16, 24
	s_add_i32 s17, s18, s17
	v_mov_b32_e32 v0, s17
	v_add_co_u32_e32 v8, vcc, s16, v8
	v_addc_co_u32_e32 v9, vcc, v9, v0, vcc
	global_store_dwordx2 v[8:9], v[16:17], off
	buffer_wbl2
	s_waitcnt vmcnt(0)
	global_atomic_cmpswap_x2 v[2:3], v12, v[14:17], s[10:11] offset:32 glc
	s_waitcnt vmcnt(0)
	v_cmp_ne_u64_e32 vcc, v[2:3], v[16:17]
	s_and_saveexec_b64 s[16:17], vcc
	s_cbranch_execz .LBB4_378
; %bb.376:
	s_mov_b64 s[18:19], 0
.LBB4_377:                              ; =>This Inner Loop Header: Depth=1
	s_sleep 1
	global_store_dwordx2 v[8:9], v[2:3], off
	v_mov_b32_e32 v0, s12
	v_mov_b32_e32 v1, s13
	buffer_wbl2
	s_waitcnt vmcnt(0)
	global_atomic_cmpswap_x2 v[0:1], v12, v[0:3], s[10:11] offset:32 glc
	s_waitcnt vmcnt(0)
	v_cmp_eq_u64_e32 vcc, v[0:1], v[2:3]
	s_or_b64 s[18:19], vcc, s[18:19]
	v_pk_mov_b32 v[2:3], v[0:1], v[0:1] op_sel:[0,1]
	s_andn2_b64 exec, exec, s[18:19]
	s_cbranch_execnz .LBB4_377
.LBB4_378:
	s_or_b64 exec, exec, s[16:17]
	v_mov_b32_e32 v3, 0
	global_load_dwordx2 v[0:1], v3, s[10:11] offset:16
	s_mov_b64 s[16:17], exec
	v_mbcnt_lo_u32_b32 v2, s16, 0
	v_mbcnt_hi_u32_b32 v2, s17, v2
	v_cmp_eq_u32_e32 vcc, 0, v2
	s_and_saveexec_b64 s[18:19], vcc
	s_cbranch_execz .LBB4_380
; %bb.379:
	s_bcnt1_i32_b64 s16, s[16:17]
	v_mov_b32_e32 v2, s16
	buffer_wbl2
	s_waitcnt vmcnt(0)
	global_atomic_add_x2 v[0:1], v[2:3], off offset:8
.LBB4_380:
	s_or_b64 exec, exec, s[18:19]
	s_waitcnt vmcnt(0)
	global_load_dwordx2 v[2:3], v[0:1], off offset:16
	s_waitcnt vmcnt(0)
	v_cmp_eq_u64_e32 vcc, 0, v[2:3]
	s_cbranch_vccnz .LBB4_382
; %bb.381:
	global_load_dword v0, v[0:1], off offset:24
	v_mov_b32_e32 v1, 0
	buffer_wbl2
	s_waitcnt vmcnt(0)
	global_store_dwordx2 v[2:3], v[0:1], off
	v_and_b32_e32 v0, 0xffffff, v0
	v_readfirstlane_b32 m0, v0
	s_sendmsg sendmsg(MSG_INTERRUPT)
.LBB4_382:
	s_or_b64 exec, exec, s[14:15]
	s_branch .LBB4_386
.LBB4_383:                              ;   in Loop: Header=BB4_386 Depth=1
	s_or_b64 exec, exec, s[14:15]
	v_readfirstlane_b32 s14, v0
	s_cmp_eq_u32 s14, 0
	s_cbranch_scc1 .LBB4_385
; %bb.384:                              ;   in Loop: Header=BB4_386 Depth=1
	s_sleep 1
	s_cbranch_execnz .LBB4_386
	s_branch .LBB4_388
.LBB4_385:
	s_branch .LBB4_388
.LBB4_386:                              ; =>This Inner Loop Header: Depth=1
	v_mov_b32_e32 v0, 1
	s_and_saveexec_b64 s[14:15], s[4:5]
	s_cbranch_execz .LBB4_383
; %bb.387:                              ;   in Loop: Header=BB4_386 Depth=1
	global_load_dword v0, v[4:5], off offset:20 glc
	s_waitcnt vmcnt(0)
	buffer_invl2
	buffer_wbinvl1_vol
	v_and_b32_e32 v0, 1, v0
	s_branch .LBB4_383
.LBB4_388:
	global_load_dwordx2 v[0:1], v[10:11], off
	s_and_saveexec_b64 s[14:15], s[4:5]
	s_cbranch_execz .LBB4_391
; %bb.389:
	v_mov_b32_e32 v10, 0
	global_load_dwordx2 v[8:9], v10, s[10:11] offset:40
	global_load_dwordx2 v[12:13], v10, s[10:11] offset:24 glc
	global_load_dwordx2 v[14:15], v10, s[10:11]
	v_mov_b32_e32 v3, s13
	s_mov_b64 s[4:5], 0
	s_waitcnt vmcnt(2)
	v_add_co_u32_e32 v5, vcc, 1, v8
	v_addc_co_u32_e32 v11, vcc, 0, v9, vcc
	v_add_co_u32_e32 v2, vcc, s12, v5
	v_addc_co_u32_e32 v3, vcc, v11, v3, vcc
	v_cmp_eq_u64_e32 vcc, 0, v[2:3]
	v_cndmask_b32_e32 v3, v3, v11, vcc
	v_cndmask_b32_e32 v2, v2, v5, vcc
	v_and_b32_e32 v5, v3, v9
	v_and_b32_e32 v8, v2, v8
	v_mul_lo_u32 v5, v5, 24
	v_mul_hi_u32 v9, v8, 24
	v_mul_lo_u32 v8, v8, 24
	v_add_u32_e32 v5, v9, v5
	s_waitcnt vmcnt(0)
	v_add_co_u32_e32 v8, vcc, v14, v8
	v_addc_co_u32_e32 v9, vcc, v15, v5, vcc
	v_mov_b32_e32 v4, v12
	global_store_dwordx2 v[8:9], v[12:13], off
	v_mov_b32_e32 v5, v13
	buffer_wbl2
	s_waitcnt vmcnt(0)
	global_atomic_cmpswap_x2 v[4:5], v10, v[2:5], s[10:11] offset:24 glc
	s_waitcnt vmcnt(0)
	v_cmp_ne_u64_e32 vcc, v[4:5], v[12:13]
	s_and_b64 exec, exec, vcc
	s_cbranch_execz .LBB4_391
.LBB4_390:                              ; =>This Inner Loop Header: Depth=1
	s_sleep 1
	global_store_dwordx2 v[8:9], v[4:5], off
	buffer_wbl2
	s_waitcnt vmcnt(0)
	global_atomic_cmpswap_x2 v[12:13], v10, v[2:5], s[10:11] offset:24 glc
	s_waitcnt vmcnt(0)
	v_cmp_eq_u64_e32 vcc, v[12:13], v[4:5]
	s_or_b64 s[4:5], vcc, s[4:5]
	v_pk_mov_b32 v[4:5], v[12:13], v[12:13] op_sel:[0,1]
	s_andn2_b64 exec, exec, s[4:5]
	s_cbranch_execnz .LBB4_390
.LBB4_391:
	s_or_b64 exec, exec, s[14:15]
.LBB4_392:
	s_or_b64 exec, exec, s[6:7]
	s_mov_b64 s[4:5], 0
	s_waitcnt vmcnt(0)
	v_pk_mov_b32 v[2:3], v[6:7], v[6:7] op_sel:[0,1]
.LBB4_393:                              ; =>This Inner Loop Header: Depth=1
	flat_load_ubyte v8, v[2:3]
	v_add_co_u32_e32 v4, vcc, 1, v2
	v_addc_co_u32_e32 v5, vcc, 0, v3, vcc
	v_pk_mov_b32 v[2:3], v[4:5], v[4:5] op_sel:[0,1]
	s_waitcnt vmcnt(0) lgkmcnt(0)
	v_cmp_eq_u16_e32 vcc, 0, v8
	s_or_b64 s[4:5], vcc, s[4:5]
	s_andn2_b64 exec, exec, s[4:5]
	s_cbranch_execnz .LBB4_393
; %bb.394:
	s_or_b64 exec, exec, s[4:5]
	v_sub_u32_e32 v4, v4, v6
	v_ashrrev_i32_e32 v5, 31, v4
	v_mov_b32_e32 v2, v6
	v_mov_b32_e32 v3, v7
	;; [unrolled: 1-line block ×3, first 2 shown]
	s_getpc_b64 s[4:5]
	s_add_u32 s4, s4, __ockl_fprintf_append_string_n@rel32@lo+4
	s_addc_u32 s5, s5, __ockl_fprintf_append_string_n@rel32@hi+12
	s_swappc_b64 s[30:31], s[4:5]
	s_trap 2
.Lfunc_end4:
	.size	__assert_fail, .Lfunc_end4-__assert_fail
                                        ; -- End function
	.section	.AMDGPU.csdata,"",@progbits
; Function info:
; codeLenInByte = 15368
; NumSgprs: 38
; NumVgprs: 51
; NumAgprs: 0
; TotalNumVgprs: 51
; ScratchSize: 64
; MemoryBound: 0
	.text
	.p2align	2                               ; -- Begin function _Z4EvaliPiiPN2rw7LibraryEi
	.type	_Z4EvaliPiiPN2rw7LibraryEi,@function
_Z4EvaliPiiPN2rw7LibraryEi:             ; @_Z4EvaliPiiPN2rw7LibraryEi
; %bb.0:
	s_waitcnt vmcnt(0) expcnt(0) lgkmcnt(0)
	s_mov_b32 s4, s33
	s_mov_b32 s33, s32
	s_or_saveexec_b64 s[6:7], -1
	buffer_store_dword v61, off, s[0:3], s33 offset:52 ; 4-byte Folded Spill
	s_mov_b64 exec, s[6:7]
	v_writelane_b32 v61, s4, 6
	s_addk_i32 s32, 0x1000
	buffer_store_dword v40, off, s[0:3], s33 offset:48 ; 4-byte Folded Spill
	buffer_store_dword v41, off, s[0:3], s33 offset:44 ; 4-byte Folded Spill
	;; [unrolled: 1-line block ×12, first 2 shown]
	buffer_store_dword v60, off, s[0:3], s33 ; 4-byte Folded Spill
	v_writelane_b32 v61, s34, 0
	v_writelane_b32 v61, s35, 1
	;; [unrolled: 1-line block ×6, first 2 shown]
	v_mov_b32_e32 v44, v1
	v_ashrrev_i32_e32 v1, 31, v0
	v_mov_b32_e32 v45, v2
	v_mov_b32_e32 v46, v3
	v_lshlrev_b64 v[2:3], 2, v[0:1]
	v_mov_b32_e32 v42, v4
	v_add_co_u32_e32 v4, vcc, v44, v2
	v_mov_b32_e32 v41, v5
	v_addc_co_u32_e32 v5, vcc, v45, v3, vcc
	flat_load_dword v1, v[4:5]
	v_mov_b32_e32 v40, v6
	v_mov_b32_e32 v43, 0
	s_waitcnt vmcnt(0) lgkmcnt(0)
	v_cmp_gt_i32_e32 vcc, 0, v1
	v_cmp_ne_u32_e64 s[4:5], v1, v40
	s_and_b64 s[4:5], vcc, s[4:5]
	s_and_saveexec_b64 s[34:35], s[4:5]
	s_cbranch_execz .LBB5_4
; %bb.1:
	v_add_co_u32_e32 v2, vcc, 0xc4dd0, v42
	v_addc_co_u32_e32 v3, vcc, 0, v41, vcc
	v_add_co_u32_e32 v6, vcc, 0xd1df0, v42
	v_addc_co_u32_e32 v7, vcc, 0, v41, vcc
	s_movk_i32 s6, 0xf0
	s_mov_b64 s[36:37], 0
	v_mov_b32_e32 v43, 0
	v_mad_i64_i32 v[56:57], s[4:5], v46, s6, v[2:3]
	v_mad_i64_i32 v[58:59], s[4:5], v46, s6, v[6:7]
.LBB5_2:                                ; =>This Inner Loop Header: Depth=1
	v_ashrrev_i32_e32 v1, 31, v0
	v_lshlrev_b64 v[0:1], 2, v[0:1]
	v_add_co_u32_e32 v47, vcc, -16, v0
	v_addc_co_u32_e32 v60, vcc, -1, v1, vcc
	v_add_co_u32_e32 v0, vcc, v56, v47
	flat_store_dword v[4:5], v40
	v_addc_co_u32_e32 v1, vcc, v57, v60, vcc
	flat_load_dword v0, v[0:1]
	v_mov_b32_e32 v1, v44
	v_mov_b32_e32 v2, v45
	;; [unrolled: 1-line block ×6, first 2 shown]
	s_getpc_b64 s[4:5]
	s_add_u32 s4, s4, _Z4EvaliPiiPN2rw7LibraryEi@rel32@lo+4
	s_addc_u32 s5, s5, _Z4EvaliPiiPN2rw7LibraryEi@rel32@hi+12
	s_swappc_b64 s[30:31], s[4:5]
	v_mov_b32_e32 v2, v0
	v_add_co_u32_e32 v0, vcc, v58, v47
	v_addc_co_u32_e32 v1, vcc, v59, v60, vcc
	flat_load_dword v0, v[0:1]
	v_add3_u32 v43, v43, v2, 1
	s_waitcnt vmcnt(0) lgkmcnt(0)
	v_ashrrev_i32_e32 v1, 31, v0
	v_lshlrev_b64 v[4:5], 2, v[0:1]
	v_add_co_u32_e32 v4, vcc, v44, v4
	v_addc_co_u32_e32 v5, vcc, v45, v5, vcc
	flat_load_dword v1, v[4:5]
	s_waitcnt vmcnt(0) lgkmcnt(0)
	v_cmp_lt_i32_e32 vcc, -1, v1
	v_cmp_eq_u32_e64 s[4:5], v1, v40
	s_or_b64 s[4:5], vcc, s[4:5]
	s_and_b64 s[4:5], exec, s[4:5]
	s_or_b64 s[36:37], s[4:5], s[36:37]
	s_andn2_b64 exec, exec, s[36:37]
	s_cbranch_execnz .LBB5_2
; %bb.3:
	s_or_b64 exec, exec, s[36:37]
.LBB5_4:
	s_or_b64 exec, exec, s[34:35]
	v_mov_b32_e32 v0, v43
	buffer_load_dword v60, off, s[0:3], s33 ; 4-byte Folded Reload
	buffer_load_dword v59, off, s[0:3], s33 offset:4 ; 4-byte Folded Reload
	buffer_load_dword v58, off, s[0:3], s33 offset:8 ; 4-byte Folded Reload
	;; [unrolled: 1-line block ×12, first 2 shown]
	v_readlane_b32 s30, v61, 4
	v_readlane_b32 s31, v61, 5
	;; [unrolled: 1-line block ×7, first 2 shown]
	s_or_saveexec_b64 s[6:7], -1
	buffer_load_dword v61, off, s[0:3], s33 offset:52 ; 4-byte Folded Reload
	s_mov_b64 exec, s[6:7]
	s_addk_i32 s32, 0xf000
	s_mov_b32 s33, s4
	s_waitcnt vmcnt(0)
	s_setpc_b64 s[30:31]
.Lfunc_end5:
	.size	_Z4EvaliPiiPN2rw7LibraryEi, .Lfunc_end5-_Z4EvaliPiiPN2rw7LibraryEi
                                        ; -- End function
	.section	.AMDGPU.csdata,"",@progbits
; Function info:
; codeLenInByte = 720
; NumSgprs: 42
; NumVgprs: 62
; NumAgprs: 0
; TotalNumVgprs: 62
; ScratchSize: 64
; MemoryBound: 0
	.text
	.protected	_Z12EvaluateNodeiPiS_S_S_S_S_PN2rw3CutES2_S_PNS0_7LibraryEPNS0_9TableNodeEi ; -- Begin function _Z12EvaluateNodeiPiS_S_S_S_S_PN2rw3CutES2_S_PNS0_7LibraryEPNS0_9TableNodeEi
	.globl	_Z12EvaluateNodeiPiS_S_S_S_S_PN2rw3CutES2_S_PNS0_7LibraryEPNS0_9TableNodeEi
	.p2align	8
	.type	_Z12EvaluateNodeiPiS_S_S_S_S_PN2rw3CutES2_S_PNS0_7LibraryEPNS0_9TableNodeEi,@function
_Z12EvaluateNodeiPiS_S_S_S_S_PN2rw3CutES2_S_PNS0_7LibraryEPNS0_9TableNodeEi: ; @_Z12EvaluateNodeiPiS_S_S_S_S_PN2rw3CutES2_S_PNS0_7LibraryEPNS0_9TableNodeEi
; %bb.0:
	s_add_u32 flat_scratch_lo, s8, s11
	s_addc_u32 flat_scratch_hi, s9, 0
	s_load_dword s8, s[6:7], 0x74
	s_load_dword s9, s[6:7], 0x0
	s_add_u32 s0, s0, s11
	s_addc_u32 s1, s1, 0
	v_and_b32_e32 v1, 0x3ff, v0
	s_waitcnt lgkmcnt(0)
	s_and_b32 s8, s8, 0xffff
	s_mul_i32 s10, s10, s8
	v_add_u32_e32 v44, s10, v1
	v_cmp_gt_u32_e32 vcc, s9, v44
	s_movk_i32 s32, 0x7800
	s_and_saveexec_b64 s[8:9], vcc
	s_cbranch_execz .LBB6_74
; %bb.1:
                                        ; implicit-def: $vgpr92 : SGPR spill to VGPR lane
	s_load_dwordx2 s[8:9], s[4:5], 0x4
	s_load_dwordx16 s[40:55], s[6:7], 0x8
	s_load_dwordx2 s[60:61], s[6:7], 0x58
	s_load_dwordx4 s[12:15], s[6:7], 0x48
	v_writelane_b32 v92, s6, 0
	v_writelane_b32 v92, s7, 1
	s_load_dword s6, s[6:7], 0x60
                                        ; kill: killed $sgpr4_sgpr5
	s_waitcnt lgkmcnt(0)
	s_lshr_b32 s4, s8, 16
	s_mul_i32 s4, s4, s9
	v_mul_lo_u32 v1, s4, v1
	v_bfe_u32 v2, v0, 10, 10
	v_writelane_b32 v92, s6, 2
	s_mov_b64 s[6:7], src_private_base
	s_mov_b32 s4, s7
	v_writelane_b32 v92, s4, 3
	s_mov_b64 s[4:5], src_shared_base
	s_mov_b32 s4, s7
	v_writelane_b32 v92, s4, 4
	s_add_u32 s4, s14, 0x80180
	v_mov_b32_e32 v43, s5
	s_addc_u32 s5, s15, 0
	v_writelane_b32 v92, s4, 5
	v_writelane_b32 v92, s5, 6
	s_add_u32 s4, s14, 0x80000
	v_writelane_b32 v92, s4, 7
	s_addc_u32 s4, s15, 0
	v_writelane_b32 v92, s4, 8
	s_add_u32 s4, s14, 0x40000
	s_addc_u32 s5, s15, 0
	v_writelane_b32 v92, s4, 9
	v_writelane_b32 v92, s5, 10
	s_add_u32 s4, s14, 0xc0180
	v_writelane_b32 v92, s4, 11
	s_addc_u32 s4, s15, 0
	s_add_u32 s62, s14, 0xc4dd0
	s_addc_u32 s63, s15, 0
	s_add_u32 s56, s14, 0xd1df0
	s_addc_u32 s57, s15, 0
	v_writelane_b32 v92, s4, 12
	s_add_u32 s4, s14, 0xdee10
	v_writelane_b32 v92, s4, 13
	s_addc_u32 s4, s15, 0
	v_writelane_b32 v92, s4, 14
	s_add_u32 s4, s14, 0xebe30
	v_writelane_b32 v92, s4, 15
	s_addc_u32 s4, s15, 0
	v_writelane_b32 v92, s4, 16
	s_add_u32 s4, s14, 0xc04f8
	v_writelane_b32 v92, s4, 17
	s_addc_u32 s4, s15, 0
	v_writelane_b32 v92, s4, 18
	s_add_u32 s4, s14, 0xc0870
	v_writelane_b32 v92, s12, 19
	v_writelane_b32 v92, s13, 20
	v_writelane_b32 v92, s14, 21
	v_mad_u32_u24 v1, v2, s9, v1
	v_bfe_u32 v0, v0, 20, 10
	v_mov_b32_e32 v47, 0
	v_add_u32_e32 v40, 1, v44
	v_mov_b32_e32 v57, 0x100
	v_writelane_b32 v92, s15, 22
	s_addc_u32 s5, s15, 0
	v_add_lshl_u32 v46, v1, v0, 5
	v_lshlrev_b32_e32 v45, 3, v40
	v_add_u32_e32 v58, 16, v57
	v_add_u32_e32 v59, 16, v47
	v_writelane_b32 v92, s4, 23
	s_mov_b32 s73, 0
	s_mov_b64 s[70:71], 0
	v_mov_b32_e32 v78, -1
	v_mov_b32_e32 v88, 0x5f5e0ff
	v_mov_b32_e32 v72, 0
	v_mov_b32_e32 v79, -1
	s_movk_i32 s58, 0xf0
	v_mov_b32_e32 v89, 0xe0
	v_mov_b32_e32 v90, 2
	v_mov_b32_e32 v60, -1
	s_mov_b32 s59, 0
	v_writelane_b32 v92, s5, 24
                                        ; implicit-def: $sgpr74_sgpr75
                                        ; implicit-def: $sgpr76_sgpr77
                                        ; implicit-def: $sgpr78_sgpr79
                                        ; implicit-def: $sgpr80_sgpr81
                                        ; implicit-def: $vgpr56
	s_branch .LBB6_3
.LBB6_2:                                ;   in Loop: Header=BB6_3 Depth=1
	s_or_b64 exec, exec, s[8:9]
	s_and_b64 s[4:5], exec, s[6:7]
	s_or_b64 s[70:71], s[4:5], s[70:71]
	s_andn2_b64 s[4:5], s[76:77], exec
	s_and_b64 s[6:7], s[80:81], exec
	s_or_b64 s[76:77], s[4:5], s[6:7]
	s_andn2_b64 s[4:5], s[74:75], exec
	s_and_b64 s[6:7], s[78:79], exec
	s_or_b64 s[74:75], s[4:5], s[6:7]
	s_andn2_b64 exec, exec, s[70:71]
	s_cbranch_execz .LBB6_70
.LBB6_3:                                ; =>This Loop Header: Depth=1
                                        ;     Child Loop BB6_12 Depth 2
                                        ;       Child Loop BB6_25 Depth 3
                                        ;       Child Loop BB6_40 Depth 3
                                        ;     Child Loop BB6_52 Depth 2
	v_or_b32_e32 v0, s59, v45
	v_mad_i64_i32 v[74:75], s[4:5], v0, 28, s[52:53]
	global_load_ubyte v0, v[74:75], off offset:24
	s_mov_b64 s[4:5], -1
                                        ; implicit-def: $sgpr8_sgpr9
                                        ; implicit-def: $sgpr10_sgpr11
	s_waitcnt vmcnt(0)
	v_cmp_ne_u16_e32 vcc, 0, v0
	s_and_saveexec_b64 s[82:83], vcc
	s_cbranch_execz .LBB6_68
; %bb.4:                                ;   in Loop: Header=BB6_3 Depth=1
	global_load_dword v73, v[74:75], off offset:20
                                        ; implicit-def: $sgpr6_sgpr7
                                        ; implicit-def: $sgpr8_sgpr9
	s_waitcnt vmcnt(0)
	v_bfe_u32 v91, v73, 27, 4
	v_cmp_gt_u32_e64 s[84:85], 3, v91
	v_cmp_lt_u32_e32 vcc, 2, v91
	s_mov_b64 s[4:5], exec
	v_writelane_b32 v92, s4, 25
	v_writelane_b32 v92, s5, 26
	s_and_b64 s[4:5], s[4:5], vcc
	s_mov_b64 exec, s[4:5]
	s_cbranch_execz .LBB6_67
; %bb.5:                                ;   in Loop: Header=BB6_3 Depth=1
	v_cmp_eq_u32_e32 vcc, 3, v91
	s_and_saveexec_b64 s[4:5], vcc
	s_cbranch_execz .LBB6_7
; %bb.6:                                ;   in Loop: Header=BB6_3 Depth=1
	v_and_b32_e32 v0, 0x87ffffff, v73
	v_or_b32_e32 v73, 0x20000000, v0
	global_store_dwordx2 v[74:75], v[72:73], off offset:16
.LBB6_7:                                ;   in Loop: Header=BB6_3 Depth=1
	s_or_b64 exec, exec, s[4:5]
	s_movk_i32 s6, 0xd8
	v_mov_b32_e32 v7, s6
	v_readlane_b32 s6, v92, 3
	v_mov_b32_e32 v8, s6
	s_movk_i32 s6, 0xe0
	v_readlane_b32 s8, v92, 19
	v_mov_b32_e32 v11, s6
	v_readlane_b32 s6, v92, 4
	v_readlane_b32 s9, v92, 20
	v_mov_b32_e32 v0, v40
	v_mov_b32_e32 v1, v74
	;; [unrolled: 1-line block ×12, first 2 shown]
	buffer_store_dword v72, off, s[0:3], 0 offset:216
	s_getpc_b64 s[4:5]
	s_add_u32 s4, s4, _Z8CalcMFFCiPN2rw3CutEPiS2_S2_S2_S2_S2_i@rel32@lo+4
	s_addc_u32 s5, s5, _Z8CalcMFFCiPN2rw3CutEPiS2_S2_S2_S2_S2_i@rel32@hi+12
	v_readlane_b32 s10, v92, 21
	v_readlane_b32 s11, v92, 22
	s_swappc_b64 s[30:31], s[4:5]
	v_readlane_b32 s4, v92, 9
	v_lshlrev_b32_sdwa v10, v90, v73 dst_sel:DWORD dst_unused:UNUSED_PAD src0_sel:DWORD src1_sel:WORD_0
	v_readlane_b32 s5, v92, 10
	v_mov_b32_e32 v41, v0
	v_mov_b32_e32 v11, s51
	s_mov_b64 s[6:7], -1
                                        ; implicit-def: $sgpr88_sgpr89
                                        ; implicit-def: $sgpr90_sgpr91
	s_nop 1
	global_load_dword v0, v10, s[4:5]
	v_readlane_b32 s4, v92, 5
	v_readlane_b32 s5, v92, 6
	s_waitcnt vmcnt(0)
	v_ashrrev_i32_e32 v1, 31, v0
	s_nop 2
	global_load_dword v62, v10, s[4:5]
	v_readlane_b32 s4, v92, 8
	v_mov_b32_e32 v2, s4
	v_lshlrev_b64 v[0:1], 4, v[0:1]
	v_readlane_b32 s4, v92, 7
	v_add_co_u32_e32 v0, vcc, s4, v0
	v_addc_co_u32_e32 v1, vcc, v2, v1, vcc
	global_load_dwordx4 v[2:5], v[0:1], off
	v_readlane_b32 s4, v92, 12
	v_mov_b32_e32 v7, s4
	v_readlane_b32 s4, v92, 11
	s_waitcnt vmcnt(1)
	v_ashrrev_i32_e32 v63, 31, v62
	v_lshlrev_b64 v[0:1], 2, v[62:63]
	v_add_co_u32_e32 v6, vcc, s4, v0
	v_addc_co_u32_e32 v7, vcc, v7, v1, vcc
	global_load_dword v14, v[6:7], off
	s_waitcnt vmcnt(1)
	v_ashrrev_i32_e32 v7, 31, v2
	v_mov_b32_e32 v6, v2
	v_ashrrev_i32_e32 v9, 31, v3
	v_mov_b32_e32 v8, v3
	;; [unrolled: 2-line block ×4, first 2 shown]
	v_lshlrev_b64 v[4:5], 2, v[6:7]
	v_add_co_u32_e32 v4, vcc, v74, v4
	v_lshlrev_b64 v[6:7], 2, v[8:9]
	v_addc_co_u32_e32 v5, vcc, v75, v5, vcc
	v_add_co_u32_e32 v6, vcc, v74, v6
	v_lshlrev_b64 v[2:3], 2, v[2:3]
	v_addc_co_u32_e32 v7, vcc, v75, v7, vcc
	;; [unrolled: 3-line block ×3, first 2 shown]
	v_add_co_u32_e32 v8, vcc, v74, v8
	v_addc_co_u32_e32 v9, vcc, v75, v9, vcc
	global_load_dword v4, v[4:5], off offset:4
	s_nop 0
	global_load_dword v6, v[6:7], off offset:4
	s_nop 0
	;; [unrolled: 2-line block ×4, first 2 shown]
	buffer_store_dword v79, off, s[0:3], 0 offset:260
	buffer_store_dword v79, off, s[0:3], 0 offset:256
	;; [unrolled: 1-line block ×3, first 2 shown]
	buffer_store_dword v79, off, s[0:3], 0
	buffer_store_dword v79, off, s[0:3], 0 offset:268
	buffer_store_dword v79, off, s[0:3], 0 offset:264
	;; [unrolled: 1-line block ×32, first 2 shown]
	s_waitcnt vmcnt(39)
	v_ashrrev_i32_e32 v5, 31, v4
	v_lshlrev_b64 v[12:13], 2, v[4:5]
	s_waitcnt vmcnt(38)
	v_ashrrev_i32_e32 v7, 31, v6
	v_add_co_u32_e32 v12, vcc, s50, v12
	v_lshlrev_b64 v[16:17], 2, v[6:7]
	v_addc_co_u32_e32 v13, vcc, v11, v13, vcc
	s_waitcnt vmcnt(37)
	v_ashrrev_i32_e32 v3, 31, v2
	v_add_co_u32_e32 v16, vcc, s50, v16
	v_lshlrev_b64 v[18:19], 2, v[2:3]
	v_addc_co_u32_e32 v17, vcc, v11, v17, vcc
	s_waitcnt vmcnt(36)
	v_ashrrev_i32_e32 v9, 31, v8
	v_add_co_u32_e32 v18, vcc, s50, v18
	v_lshlrev_b64 v[20:21], 2, v[8:9]
	v_addc_co_u32_e32 v19, vcc, v11, v19, vcc
	v_add_co_u32_e32 v20, vcc, s50, v20
	v_addc_co_u32_e32 v21, vcc, v11, v21, vcc
	global_load_dword v3, v[12:13], off
	global_load_dword v5, v[16:17], off
	;; [unrolled: 1-line block ×4, first 2 shown]
	v_cmp_lt_i32_e32 vcc, 0, v14
	buffer_store_dword v79, off, s[0:3], 0 offset:328
	buffer_store_dword v79, off, s[0:3], 0 offset:332
	buffer_store_dword v79, off, s[0:3], 0 offset:72
	buffer_store_dword v79, off, s[0:3], 0 offset:76
	buffer_store_dword v79, off, s[0:3], 0 offset:336
	buffer_store_dword v79, off, s[0:3], 0 offset:340
	buffer_store_dword v79, off, s[0:3], 0 offset:80
	buffer_store_dword v79, off, s[0:3], 0 offset:84
	buffer_store_dword v79, off, s[0:3], 0 offset:344
	buffer_store_dword v79, off, s[0:3], 0 offset:348
	buffer_store_dword v79, off, s[0:3], 0 offset:92
	buffer_store_dword v79, off, s[0:3], 0 offset:88
	buffer_store_dword v79, off, s[0:3], 0 offset:352
	buffer_store_dword v79, off, s[0:3], 0 offset:356
	buffer_store_dword v79, off, s[0:3], 0 offset:96
	buffer_store_dword v79, off, s[0:3], 0 offset:100
	buffer_store_dword v79, off, s[0:3], 0 offset:360
	buffer_store_dword v79, off, s[0:3], 0 offset:364
	buffer_store_dword v79, off, s[0:3], 0 offset:104
	buffer_store_dword v79, off, s[0:3], 0 offset:108
	buffer_store_dword v79, off, s[0:3], 0 offset:368
	buffer_store_dword v79, off, s[0:3], 0 offset:372
	buffer_store_dword v79, off, s[0:3], 0 offset:112
	buffer_store_dword v79, off, s[0:3], 0 offset:116
	buffer_store_dword v79, off, s[0:3], 0 offset:376
	buffer_store_dword v79, off, s[0:3], 0 offset:380
	buffer_store_dword v79, off, s[0:3], 0 offset:120
	buffer_store_dword v79, off, s[0:3], 0 offset:124
	buffer_store_dword v79, off, s[0:3], 0 offset:388
	buffer_store_dword v79, off, s[0:3], 0 offset:384
	buffer_store_dword v79, off, s[0:3], 0 offset:128
	buffer_store_dword v79, off, s[0:3], 0 offset:132
	buffer_store_dword v79, off, s[0:3], 0 offset:392
	buffer_store_dword v79, off, s[0:3], 0 offset:396
	buffer_store_dword v79, off, s[0:3], 0 offset:136
	buffer_store_dword v79, off, s[0:3], 0 offset:140
	buffer_store_dword v79, off, s[0:3], 0 offset:400
	buffer_store_dword v79, off, s[0:3], 0 offset:404
	buffer_store_dword v79, off, s[0:3], 0 offset:144
	buffer_store_dword v79, off, s[0:3], 0 offset:148
	buffer_store_dword v79, off, s[0:3], 0 offset:408
	buffer_store_dword v79, off, s[0:3], 0 offset:412
	buffer_store_dword v79, off, s[0:3], 0 offset:152
	buffer_store_dword v79, off, s[0:3], 0 offset:156
	buffer_store_dword v79, off, s[0:3], 0 offset:416
	buffer_store_dword v79, off, s[0:3], 0 offset:420
	buffer_store_dword v79, off, s[0:3], 0 offset:164
	buffer_store_dword v79, off, s[0:3], 0 offset:160
	buffer_store_dword v79, off, s[0:3], 0 offset:424
	buffer_store_dword v79, off, s[0:3], 0 offset:428
	buffer_store_dword v79, off, s[0:3], 0 offset:168
	buffer_store_dword v79, off, s[0:3], 0 offset:172
	buffer_store_dword v79, off, s[0:3], 0 offset:432
	buffer_store_dword v79, off, s[0:3], 0 offset:436
	buffer_store_dword v79, off, s[0:3], 0 offset:176
	buffer_store_dword v79, off, s[0:3], 0 offset:180
	buffer_store_dword v79, off, s[0:3], 0 offset:440
	buffer_store_dword v79, off, s[0:3], 0 offset:444
	buffer_store_dword v79, off, s[0:3], 0 offset:184
	buffer_store_dword v79, off, s[0:3], 0 offset:188
	buffer_store_dword v79, off, s[0:3], 0 offset:448
	buffer_store_dword v79, off, s[0:3], 0 offset:452
	buffer_store_dword v79, off, s[0:3], 0 offset:192
	buffer_store_dword v79, off, s[0:3], 0 offset:196
	buffer_store_dword v79, off, s[0:3], 0 offset:460
	buffer_store_dword v79, off, s[0:3], 0 offset:456
	buffer_store_dword v79, off, s[0:3], 0 offset:200
	buffer_store_dword v79, off, s[0:3], 0 offset:204
	buffer_store_dword v79, off, s[0:3], 0 offset:464
	buffer_store_dword v79, off, s[0:3], 0 offset:468
	buffer_store_dword v79, off, s[0:3], 0 offset:208
	buffer_store_dword v79, off, s[0:3], 0 offset:212
	buffer_store_dword v4, off, s[0:3], 0
	buffer_store_dword v6, off, s[0:3], 0 offset:4
	buffer_store_dword v8, off, s[0:3], 0 offset:12
	;; [unrolled: 1-line block ×3, first 2 shown]
	s_waitcnt vmcnt(62)
	buffer_store_dword v3, off, s[0:3], 0 offset:256
	buffer_store_dword v5, off, s[0:3], 0 offset:260
	;; [unrolled: 1-line block ×4, first 2 shown]
	s_and_saveexec_b64 s[10:11], vcc
	s_cbranch_execz .LBB6_48
; %bb.8:                                ;   in Loop: Header=BB6_3 Depth=1
	v_readlane_b32 s4, v92, 19
	v_readlane_b32 s5, v92, 20
	;; [unrolled: 1-line block ×4, first 2 shown]
	buffer_load_dword v15, off, s[0:3], 0 offset:216
	s_getpc_b64 s[4:5]
	s_add_u32 s4, s4, P@rel32@lo+4
	s_addc_u32 s5, s5, P@rel32@hi+12
	global_load_dwordx2 v[2:3], v72, s[4:5]
	global_load_dword v4, v10, s[6:7]
	v_mov_b32_e32 v5, v72
	s_mov_b32 s72, 0
	s_mov_b64 s[14:15], 0
	s_mov_b64 s[22:23], 0
                                        ; implicit-def: $sgpr12_sgpr13
                                        ; implicit-def: $sgpr18_sgpr19
                                        ; implicit-def: $sgpr16_sgpr17
                                        ; implicit-def: $sgpr20_sgpr21
                                        ; implicit-def: $sgpr24_sgpr25
	s_waitcnt vmcnt(2)
	v_cmp_lt_i32_e64 s[4:5], 0, v15
	s_waitcnt vmcnt(0)
	v_and_b32_e32 v4, 15, v4
	s_branch .LBB6_12
.LBB6_9:                                ;   in Loop: Header=BB6_12 Depth=2
	s_or_b64 exec, exec, s[34:35]
	s_add_i32 s72, s72, 1
	v_cmp_eq_u32_e32 vcc, s72, v14
	s_xor_b64 s[34:35], exec, -1
	s_orn2_b64 s[6:7], vcc, exec
.LBB6_10:                               ;   in Loop: Header=BB6_12 Depth=2
	s_or_b64 exec, exec, s[30:31]
	s_andn2_b64 s[8:9], s[24:25], exec
	s_and_b64 s[24:25], s[34:35], exec
	s_or_b64 s[24:25], s[8:9], s[24:25]
	s_andn2_b64 s[8:9], s[20:21], exec
	s_and_b64 s[6:7], s[6:7], exec
	s_or_b64 s[20:21], s[8:9], s[6:7]
.LBB6_11:                               ;   in Loop: Header=BB6_12 Depth=2
	s_or_b64 exec, exec, s[28:29]
	s_xor_b64 s[6:7], s[24:25], -1
	s_and_b64 s[8:9], exec, s[20:21]
	s_or_b64 s[22:23], s[8:9], s[22:23]
	s_andn2_b64 s[8:9], s[16:17], exec
	s_and_b64 s[16:17], s[26:27], exec
	s_or_b64 s[16:17], s[8:9], s[16:17]
	s_andn2_b64 s[8:9], s[18:19], exec
	s_and_b64 s[18:19], s[14:15], exec
	;; [unrolled: 3-line block ×3, first 2 shown]
	s_or_b64 s[12:13], s[8:9], s[6:7]
	s_andn2_b64 exec, exec, s[22:23]
	s_cbranch_execz .LBB6_47
.LBB6_12:                               ;   Parent Loop BB6_3 Depth=1
                                        ; =>  This Loop Header: Depth=2
                                        ;       Child Loop BB6_25 Depth 3
                                        ;       Child Loop BB6_40 Depth 3
	s_lshl_b64 s[8:9], s[72:73], 2
	s_add_u32 s6, s8, s62
	s_addc_u32 s7, s9, s63
	v_pk_mov_b32 v[6:7], s[6:7], s[6:7] op_sel:[0,1]
	v_mad_i64_i32 v[6:7], s[6:7], v62, s58, v[6:7]
	global_load_dword v6, v[6:7], off
	s_mov_b64 s[26:27], -1
	s_or_b64 s[24:25], s[24:25], exec
	s_or_b64 s[20:21], s[20:21], exec
	s_waitcnt vmcnt(0)
	v_lshl_add_u32 v7, v6, 2, v57
	buffer_load_dword v8, v7, s[0:3], 0 offen
	s_waitcnt vmcnt(0)
	v_cmp_ne_u32_e32 vcc, -1, v8
	s_and_saveexec_b64 s[28:29], vcc
	s_cbranch_execz .LBB6_11
; %bb.13:                               ;   in Loop: Header=BB6_12 Depth=2
	s_add_u32 s6, s8, s56
	s_addc_u32 s7, s9, s57
	v_pk_mov_b32 v[10:11], s[6:7], s[6:7] op_sel:[0,1]
	v_mad_i64_i32 v[10:11], s[6:7], v62, s58, v[10:11]
	global_load_dword v7, v[10:11], off
	s_mov_b64 s[6:7], -1
	s_mov_b64 s[34:35], -1
	s_waitcnt vmcnt(0)
	v_lshl_add_u32 v9, v7, 2, v57
	buffer_load_dword v9, v9, s[0:3], 0 offen
	s_waitcnt vmcnt(0)
	v_cmp_ne_u32_e32 vcc, -1, v9
	s_and_saveexec_b64 s[30:31], vcc
	s_cbranch_execz .LBB6_10
; %bb.14:                               ;   in Loop: Header=BB6_12 Depth=2
	v_lshl_add_u32 v10, v6, 2, v47
	buffer_load_dword v17, v10, s[0:3], 0 offen
	v_max_i32_e32 v8, v8, v9
	s_lshl_b32 s33, s72, 2
	v_add_u32_e32 v8, 1, v8
	v_add_u32_e32 v16, s33, v58
	buffer_store_dword v8, v16, s[0:3], 0 offen
	s_waitcnt vmcnt(1)
	v_cmp_ne_u32_e32 vcc, -1, v17
	s_and_saveexec_b64 s[34:35], vcc
	s_cbranch_execz .LBB6_9
; %bb.15:                               ;   in Loop: Header=BB6_12 Depth=2
	v_lshl_add_u32 v8, v7, 2, v47
	buffer_load_dword v8, v8, s[0:3], 0 offen
	v_cmp_ne_u32_e32 vcc, v17, v40
	s_waitcnt vmcnt(0)
	v_cmp_ne_u32_e64 s[6:7], -1, v8
	s_and_b64 s[6:7], vcc, s[6:7]
	v_cmp_ne_u32_e32 vcc, v8, v40
	s_and_b64 s[6:7], vcc, s[6:7]
	s_and_b64 exec, exec, s[6:7]
	s_cbranch_execz .LBB6_9
; %bb.16:                               ;   in Loop: Header=BB6_12 Depth=2
	v_readlane_b32 s6, v92, 13
	s_add_u32 s6, s8, s6
	v_readlane_b32 s7, v92, 14
	s_addc_u32 s7, s9, s7
	v_pk_mov_b32 v[10:11], s[6:7], s[6:7] op_sel:[0,1]
	v_mad_i64_i32 v[10:11], s[6:7], v62, s58, v[10:11]
	v_readlane_b32 s6, v92, 15
	s_add_u32 s6, s8, s6
	v_readlane_b32 s7, v92, 16
	s_addc_u32 s7, s9, s7
	v_pk_mov_b32 v[12:13], s[6:7], s[6:7] op_sel:[0,1]
	v_mad_i64_i32 v[12:13], s[6:7], v62, s58, v[12:13]
	global_load_dword v9, v[10:11], off
	s_nop 0
	global_load_dword v12, v[12:13], off
	v_lshrrev_b64 v[10:11], v6, v[4:5]
	v_lshrrev_b64 v[6:7], v7, v[4:5]
	v_and_b32_e32 v6, 1, v6
	v_and_b32_e32 v7, 1, v10
	v_cmp_gt_i32_e32 vcc, v17, v8
	v_mov_b32_e32 v20, v8
	s_waitcnt vmcnt(1)
	v_xor_b32_e32 v18, v9, v7
	s_waitcnt vmcnt(0)
	v_xor_b32_e32 v6, v12, v6
	v_mov_b32_e32 v19, v6
	s_and_saveexec_b64 s[6:7], vcc
; %bb.17:                               ;   in Loop: Header=BB6_12 Depth=2
	v_mov_b32_e32 v19, v18
	v_mov_b32_e32 v18, v6
	;; [unrolled: 1-line block ×4, first 2 shown]
; %bb.18:                               ;   in Loop: Header=BB6_12 Depth=2
	s_or_b64 exec, exec, s[6:7]
	global_load_dword v10, v[2:3], off
	s_movk_i32 s6, 0x1f01
	v_mul_lo_u32 v6, v17, s6
	s_movk_i32 s6, 0xb9b
	v_mul_lo_u32 v7, v20, s6
	;; [unrolled: 2-line block ×4, first 2 shown]
	v_xor_b32_e32 v8, v8, v9
	v_xor_b32_e32 v7, v8, v7
	;; [unrolled: 1-line block ×3, first 2 shown]
	v_ashrrev_i32_e32 v7, 31, v6
                                        ; implicit-def: $vgpr8_vgpr9
	s_waitcnt vmcnt(0)
	v_ashrrev_i32_e32 v11, 31, v10
	v_or_b32_e32 v73, v7, v11
	v_cmp_ne_u64_e32 vcc, 0, v[72:73]
	s_and_saveexec_b64 s[6:7], vcc
	s_xor_b64 s[36:37], exec, s[6:7]
	s_cbranch_execz .LBB6_20
; %bb.19:                               ;   in Loop: Header=BB6_12 Depth=2
	v_cvt_f32_u32_e32 v8, v10
	v_cvt_f32_u32_e32 v9, v11
	v_sub_co_u32_e32 v12, vcc, 0, v10
	v_subb_co_u32_e32 v13, vcc, 0, v11, vcc
	v_mac_f32_e32 v8, 0x4f800000, v9
	v_rcp_f32_e32 v8, v8
	v_mul_f32_e32 v8, 0x5f7ffffc, v8
	v_mul_f32_e32 v9, 0x2f800000, v8
	v_trunc_f32_e32 v9, v9
	v_mac_f32_e32 v8, 0xcf800000, v9
	v_cvt_u32_f32_e32 v9, v9
	v_cvt_u32_f32_e32 v8, v8
	v_mul_lo_u32 v21, v12, v9
	v_mul_hi_u32 v23, v12, v8
	v_mul_lo_u32 v22, v13, v8
	v_add_u32_e32 v21, v23, v21
	v_add_u32_e32 v21, v21, v22
	v_mul_lo_u32 v24, v12, v8
	v_mul_lo_u32 v23, v8, v21
	v_mul_hi_u32 v25, v8, v24
	v_mul_hi_u32 v22, v8, v21
	v_add_co_u32_e32 v23, vcc, v25, v23
	v_addc_co_u32_e32 v22, vcc, 0, v22, vcc
	v_mul_hi_u32 v26, v9, v24
	v_mul_lo_u32 v24, v9, v24
	v_add_co_u32_e32 v23, vcc, v23, v24
	v_mul_hi_u32 v25, v9, v21
	v_addc_co_u32_e32 v22, vcc, v22, v26, vcc
	v_addc_co_u32_e32 v23, vcc, 0, v25, vcc
	v_mul_lo_u32 v21, v9, v21
	v_add_co_u32_e32 v21, vcc, v22, v21
	v_addc_co_u32_e32 v22, vcc, 0, v23, vcc
	v_add_co_u32_e32 v8, vcc, v8, v21
	v_addc_co_u32_e32 v9, vcc, v9, v22, vcc
	v_mul_lo_u32 v21, v12, v9
	v_mul_hi_u32 v22, v12, v8
	v_add_u32_e32 v21, v22, v21
	v_mul_lo_u32 v13, v13, v8
	v_add_u32_e32 v13, v21, v13
	v_mul_lo_u32 v12, v12, v8
	v_mul_hi_u32 v22, v9, v12
	v_mul_lo_u32 v23, v9, v12
	v_mul_lo_u32 v25, v8, v13
	v_mul_hi_u32 v12, v8, v12
	v_mul_hi_u32 v24, v8, v13
	v_add_co_u32_e32 v12, vcc, v12, v25
	v_addc_co_u32_e32 v24, vcc, 0, v24, vcc
	v_add_co_u32_e32 v12, vcc, v12, v23
	v_mul_hi_u32 v21, v9, v13
	v_addc_co_u32_e32 v12, vcc, v24, v22, vcc
	v_addc_co_u32_e32 v21, vcc, 0, v21, vcc
	v_mul_lo_u32 v13, v9, v13
	v_add_co_u32_e32 v12, vcc, v12, v13
	v_addc_co_u32_e32 v13, vcc, 0, v21, vcc
	v_add_co_u32_e32 v12, vcc, v8, v12
	v_addc_co_u32_e32 v13, vcc, v9, v13, vcc
	v_mad_u64_u32 v[8:9], s[6:7], v6, v13, 0
	v_mul_hi_u32 v21, v6, v12
	v_add_co_u32_e32 v21, vcc, v21, v8
	v_addc_co_u32_e32 v22, vcc, 0, v9, vcc
	v_mad_u64_u32 v[8:9], s[6:7], v7, v13, 0
	v_mad_u64_u32 v[12:13], s[6:7], v7, v12, 0
	v_add_co_u32_e32 v12, vcc, v21, v12
	v_addc_co_u32_e32 v12, vcc, v22, v13, vcc
	v_addc_co_u32_e32 v9, vcc, 0, v9, vcc
	v_add_co_u32_e32 v8, vcc, v12, v8
	v_addc_co_u32_e32 v9, vcc, 0, v9, vcc
	v_mul_lo_u32 v12, v11, v8
	v_mul_lo_u32 v13, v10, v9
	v_mad_u64_u32 v[8:9], s[6:7], v10, v8, 0
	v_add3_u32 v9, v9, v13, v12
	v_sub_u32_e32 v12, v7, v9
	v_sub_co_u32_e32 v6, vcc, v6, v8
	v_subb_co_u32_e64 v8, s[6:7], v12, v11, vcc
	v_sub_co_u32_e64 v12, s[6:7], v6, v10
	v_subbrev_co_u32_e64 v13, s[8:9], 0, v8, s[6:7]
	v_cmp_ge_u32_e64 s[8:9], v13, v11
	v_cndmask_b32_e64 v21, 0, -1, s[8:9]
	v_cmp_ge_u32_e64 s[8:9], v12, v10
	v_subb_co_u32_e32 v7, vcc, v7, v9, vcc
	v_cndmask_b32_e64 v22, 0, -1, s[8:9]
	v_cmp_eq_u32_e64 s[8:9], v13, v11
	v_subb_co_u32_e64 v8, s[6:7], v8, v11, s[6:7]
	v_cmp_ge_u32_e32 vcc, v7, v11
	v_cndmask_b32_e64 v21, v21, v22, s[8:9]
	v_sub_co_u32_e64 v22, s[6:7], v12, v10
	v_cndmask_b32_e64 v9, 0, -1, vcc
	v_cmp_ge_u32_e32 vcc, v6, v10
	v_subbrev_co_u32_e64 v8, s[6:7], 0, v8, s[6:7]
	v_cndmask_b32_e64 v10, 0, -1, vcc
	v_cmp_eq_u32_e32 vcc, v7, v11
	v_cmp_ne_u32_e64 s[6:7], 0, v21
	v_cndmask_b32_e32 v9, v9, v10, vcc
	v_cndmask_b32_e64 v8, v13, v8, s[6:7]
	v_cmp_ne_u32_e32 vcc, 0, v9
	v_cndmask_b32_e32 v9, v7, v8, vcc
	v_cndmask_b32_e64 v7, v12, v22, s[6:7]
	v_cndmask_b32_e32 v8, v6, v7, vcc
                                        ; implicit-def: $vgpr10
                                        ; implicit-def: $vgpr6_vgpr7
.LBB6_20:                               ;   in Loop: Header=BB6_12 Depth=2
	s_andn2_saveexec_b64 s[6:7], s[36:37]
	s_cbranch_execz .LBB6_22
; %bb.21:                               ;   in Loop: Header=BB6_12 Depth=2
	v_cvt_f32_u32_e32 v7, v10
	v_sub_u32_e32 v8, 0, v10
	v_mov_b32_e32 v9, v72
	v_rcp_iflag_f32_e32 v7, v7
	v_mul_f32_e32 v7, 0x4f7ffffe, v7
	v_cvt_u32_f32_e32 v7, v7
	v_mul_lo_u32 v8, v8, v7
	v_mul_hi_u32 v8, v7, v8
	v_add_u32_e32 v7, v7, v8
	v_mul_hi_u32 v7, v6, v7
	v_mul_lo_u32 v7, v7, v10
	v_sub_u32_e32 v6, v6, v7
	v_sub_u32_e32 v7, v6, v10
	v_cmp_ge_u32_e32 vcc, v6, v10
	v_cndmask_b32_e32 v6, v6, v7, vcc
	v_sub_u32_e32 v7, v6, v10
	v_cmp_ge_u32_e32 vcc, v6, v10
	v_cndmask_b32_e32 v8, v6, v7, vcc
.LBB6_22:                               ;   in Loop: Header=BB6_12 Depth=2
	s_or_b64 exec, exec, s[6:7]
	v_lshlrev_b64 v[6:7], 3, v[8:9]
	v_mov_b32_e32 v8, s61
	v_add_co_u32_e32 v6, vcc, s60, v6
	v_addc_co_u32_e32 v7, vcc, v8, v7, vcc
	global_load_dword v12, v[6:7], off offset:4
	v_mov_b32_e32 v6, -1
	s_waitcnt vmcnt(0)
	v_cmp_ne_u32_e32 vcc, -1, v12
	s_and_saveexec_b64 s[6:7], vcc
	s_cbranch_execz .LBB6_36
; %bb.23:                               ;   in Loop: Header=BB6_12 Depth=2
	s_mov_b64 s[8:9], 0
                                        ; implicit-def: $vgpr21
	s_branch .LBB6_25
.LBB6_24:                               ;   in Loop: Header=BB6_25 Depth=3
	s_or_b64 exec, exec, s[38:39]
	s_and_b64 s[36:37], exec, s[36:37]
	s_or_b64 s[8:9], s[36:37], s[8:9]
	v_mov_b32_e32 v21, v8
	s_andn2_b64 exec, exec, s[8:9]
	s_cbranch_execz .LBB6_35
.LBB6_25:                               ;   Parent Loop BB6_3 Depth=1
                                        ;     Parent Loop BB6_12 Depth=2
                                        ; =>    This Inner Loop Header: Depth=3
	v_ashrrev_i32_e32 v13, 31, v12
	v_lshlrev_b64 v[6:7], 3, v[12:13]
	v_mov_b32_e32 v8, s61
	v_add_co_u32_e32 v10, vcc, s60, v6
	v_addc_co_u32_e32 v11, vcc, v8, v7, vcc
	global_load_dword v8, v[10:11], off
	v_mov_b32_e32 v13, s43
                                        ; implicit-def: $sgpr64_sgpr65
	s_waitcnt vmcnt(0)
	v_ashrrev_i32_e32 v9, 31, v8
	v_lshlrev_b64 v[6:7], 2, v[8:9]
	v_add_co_u32_e32 v12, vcc, s42, v6
	v_addc_co_u32_e32 v13, vcc, v13, v7, vcc
	global_load_dword v9, v[12:13], off
	s_waitcnt vmcnt(0)
	v_cmp_ne_u32_e64 s[36:37], v9, v17
	v_cmp_eq_u32_e32 vcc, v9, v17
	s_and_saveexec_b64 s[38:39], vcc
	s_cbranch_execz .LBB6_31
; %bb.26:                               ;   in Loop: Header=BB6_25 Depth=3
	v_mov_b32_e32 v9, s45
	v_add_co_u32_e32 v12, vcc, s44, v6
	v_addc_co_u32_e32 v13, vcc, v9, v7, vcc
	global_load_dword v9, v[12:13], off
                                        ; implicit-def: $sgpr64_sgpr65
	s_waitcnt vmcnt(0)
	v_cmp_ne_u32_e64 s[66:67], v9, v20
	v_cmp_eq_u32_e32 vcc, v9, v20
	s_and_saveexec_b64 s[68:69], vcc
	s_cbranch_execz .LBB6_30
; %bb.27:                               ;   in Loop: Header=BB6_25 Depth=3
	v_mov_b32_e32 v9, s47
	v_add_co_u32_e32 v12, vcc, s46, v6
	v_addc_co_u32_e32 v13, vcc, v9, v7, vcc
	global_load_dword v9, v[12:13], off
                                        ; implicit-def: $sgpr64_sgpr65
	s_waitcnt vmcnt(0)
	v_cmp_ne_u32_e64 s[88:89], v9, v18
	v_cmp_eq_u32_e32 vcc, v9, v18
	s_and_saveexec_b64 s[90:91], vcc
	s_cbranch_execz .LBB6_29
; %bb.28:                               ;   in Loop: Header=BB6_25 Depth=3
	v_mov_b32_e32 v9, s49
	v_add_co_u32_e32 v6, vcc, s48, v6
	v_addc_co_u32_e32 v7, vcc, v9, v7, vcc
	global_load_dword v6, v[6:7], off
	s_andn2_b64 s[86:87], s[88:89], exec
	s_mov_b64 s[64:65], 0
	s_waitcnt vmcnt(0)
	v_cmp_ne_u32_e32 vcc, v6, v19
	s_and_b64 s[88:89], vcc, exec
	s_or_b64 s[88:89], s[86:87], s[88:89]
.LBB6_29:                               ;   in Loop: Header=BB6_25 Depth=3
	s_or_b64 exec, exec, s[90:91]
	s_andn2_b64 s[66:67], s[66:67], exec
	s_and_b64 s[86:87], s[88:89], exec
	s_or_b64 s[66:67], s[66:67], s[86:87]
.LBB6_30:                               ;   in Loop: Header=BB6_25 Depth=3
	s_or_b64 exec, exec, s[68:69]
	s_andn2_b64 s[36:37], s[36:37], exec
	s_and_b64 s[66:67], s[66:67], exec
	s_or_b64 s[36:37], s[36:37], s[66:67]
.LBB6_31:                               ;   in Loop: Header=BB6_25 Depth=3
	s_or_b64 exec, exec, s[38:39]
	s_and_saveexec_b64 s[38:39], s[36:37]
; %bb.32:                               ;   in Loop: Header=BB6_25 Depth=3
	s_or_b64 s[64:65], s[64:65], exec
	v_mov_b32_e32 v8, v21
; %bb.33:                               ;   in Loop: Header=BB6_25 Depth=3
	s_or_b64 exec, exec, s[38:39]
	s_mov_b64 s[36:37], -1
	v_mov_b32_e32 v6, v8
                                        ; implicit-def: $vgpr12
	s_and_saveexec_b64 s[38:39], s[64:65]
	s_cbranch_execz .LBB6_24
; %bb.34:                               ;   in Loop: Header=BB6_25 Depth=3
	global_load_dword v12, v[10:11], off offset:4
	v_mov_b32_e32 v6, -1
	s_waitcnt vmcnt(0)
	v_cmp_eq_u32_e32 vcc, -1, v12
	s_orn2_b64 s[36:37], vcc, exec
	s_branch .LBB6_24
.LBB6_35:                               ;   in Loop: Header=BB6_12 Depth=2
	s_or_b64 exec, exec, s[8:9]
.LBB6_36:                               ;   in Loop: Header=BB6_12 Depth=2
	s_or_b64 exec, exec, s[6:7]
	v_cmp_ne_u32_e32 vcc, -1, v6
	s_and_b64 exec, exec, vcc
	s_cbranch_execz .LBB6_9
; %bb.37:                               ;   in Loop: Header=BB6_12 Depth=2
	v_mov_b32_e32 v8, 0
	s_and_saveexec_b64 s[6:7], s[4:5]
	s_cbranch_execz .LBB6_45
; %bb.38:                               ;   in Loop: Header=BB6_12 Depth=2
	s_mov_b32 s68, 0
	s_mov_b64 s[8:9], 0
	v_mov_b32_e32 v7, v46
                                        ; implicit-def: $sgpr36_sgpr37
                                        ; implicit-def: $sgpr64_sgpr65
                                        ; implicit-def: $sgpr38_sgpr39
	s_branch .LBB6_40
.LBB6_39:                               ;   in Loop: Header=BB6_40 Depth=3
	s_or_b64 exec, exec, s[66:67]
	s_and_b64 s[66:67], exec, s[64:65]
	s_or_b64 s[8:9], s[66:67], s[8:9]
	s_andn2_b64 s[36:37], s[36:37], exec
	s_and_b64 s[66:67], s[38:39], exec
	v_mov_b32_e32 v8, s86
	v_mov_b32_e32 v9, s68
	s_or_b64 s[36:37], s[36:37], s[66:67]
	s_mov_b32 s68, s69
	s_andn2_b64 exec, exec, s[8:9]
	s_cbranch_execz .LBB6_42
.LBB6_40:                               ;   Parent Loop BB6_3 Depth=1
                                        ;     Parent Loop BB6_12 Depth=2
                                        ; =>    This Inner Loop Header: Depth=3
	ds_read_b32 v8, v7
	s_or_b64 s[38:39], s[38:39], exec
	s_or_b64 s[64:65], s[64:65], exec
                                        ; implicit-def: $sgpr69
                                        ; implicit-def: $sgpr86
	s_waitcnt lgkmcnt(0)
	v_cmp_ne_u32_e32 vcc, v8, v6
	s_and_saveexec_b64 s[66:67], vcc
	s_cbranch_execz .LBB6_39
; %bb.41:                               ;   in Loop: Header=BB6_40 Depth=3
	s_add_i32 s69, s68, 1
	v_cmp_eq_u32_e32 vcc, s69, v15
	s_andn2_b64 s[64:65], s[64:65], exec
	s_and_b64 s[88:89], vcc, exec
	v_add_u32_e32 v7, 4, v7
	s_mov_b32 s86, 0
	s_andn2_b64 s[38:39], s[38:39], exec
	s_or_b64 s[64:65], s[64:65], s[88:89]
	s_branch .LBB6_39
.LBB6_42:                               ;   in Loop: Header=BB6_12 Depth=2
	s_or_b64 exec, exec, s[8:9]
	s_and_saveexec_b64 s[8:9], s[36:37]
	s_xor_b64 s[8:9], exec, s[8:9]
	s_cbranch_execz .LBB6_44
; %bb.43:                               ;   in Loop: Header=BB6_12 Depth=2
	v_lshl_add_u32 v7, v9, 2, v89
	buffer_load_dword v7, v7, s[0:3], 0 offen
	s_waitcnt vmcnt(0)
	v_cmp_eq_u32_e32 vcc, 0, v7
	v_cndmask_b32_e64 v8, 0, 1, vcc
.LBB6_44:                               ;   in Loop: Header=BB6_12 Depth=2
	s_or_b64 exec, exec, s[8:9]
.LBB6_45:                               ;   in Loop: Header=BB6_12 Depth=2
	s_or_b64 exec, exec, s[6:7]
	v_cmp_eq_u32_e32 vcc, 0, v8
	s_and_b64 exec, exec, vcc
	s_cbranch_execz .LBB6_9
; %bb.46:                               ;   in Loop: Header=BB6_12 Depth=2
	v_ashrrev_i32_e32 v7, 31, v6
	v_lshlrev_b64 v[8:9], 2, v[6:7]
	v_mov_b32_e32 v7, s51
	v_add_co_u32_e32 v8, vcc, s50, v8
	v_addc_co_u32_e32 v9, vcc, v7, v9, vcc
	global_load_dword v7, v[8:9], off
	v_add_u32_e32 v8, s33, v59
	buffer_store_dword v6, v8, s[0:3], 0 offen
	s_waitcnt vmcnt(1)
	buffer_store_dword v7, v16, s[0:3], 0 offen
	s_branch .LBB6_9
.LBB6_47:                               ;   in Loop: Header=BB6_3 Depth=1
	s_or_b64 exec, exec, s[22:23]
	s_and_b64 s[90:91], s[18:19], exec
	s_and_b64 s[88:89], s[16:17], exec
	s_orn2_b64 s[6:7], s[12:13], exec
.LBB6_48:                               ;   in Loop: Header=BB6_3 Depth=1
	s_or_b64 exec, exec, s[10:11]
	s_mov_b64 s[4:5], s[84:85]
	s_and_saveexec_b64 s[8:9], s[6:7]
	s_xor_b64 s[92:93], exec, s[8:9]
	s_cbranch_execz .LBB6_66
; %bb.49:                               ;   in Loop: Header=BB6_3 Depth=1
	v_readlane_b32 s4, v92, 18
	v_mov_b32_e32 v2, s4
	v_readlane_b32 s4, v92, 17
	v_add_co_u32_e32 v0, vcc, s4, v0
	v_addc_co_u32_e32 v1, vcc, v2, v1, vcc
	global_load_dword v63, v[0:1], off
	s_mov_b64 s[8:9], -1
                                        ; implicit-def: $sgpr4_sgpr5
                                        ; implicit-def: $sgpr6_sgpr7
	s_waitcnt vmcnt(0)
	v_cmp_lt_i32_e32 vcc, 0, v63
	s_and_saveexec_b64 s[94:95], vcc
	s_cbranch_execz .LBB6_63
; %bb.50:                               ;   in Loop: Header=BB6_3 Depth=1
	v_readlane_b32 s4, v92, 23
	v_readlane_b32 s5, v92, 24
	v_pk_mov_b32 v[0:1], s[4:5], s[4:5] op_sel:[0,1]
	s_movk_i32 s4, 0x50
	v_mad_i64_i32 v[76:77], s[4:5], v62, s4, v[0:1]
	s_mov_b32 s72, 0
	s_mov_b32 s86, -2
	s_mov_b64 s[96:97], 0
                                        ; implicit-def: $sgpr38_sgpr39
                                        ; implicit-def: $sgpr68_sgpr69
                                        ; implicit-def: $sgpr98_sgpr99
	s_branch .LBB6_52
.LBB6_51:                               ;   in Loop: Header=BB6_52 Depth=2
	s_or_b64 exec, exec, s[12:13]
	s_xor_b64 s[8:9], s[8:9], -1
	s_and_b64 s[10:11], exec, s[64:65]
	s_or_b64 s[96:97], s[10:11], s[96:97]
	s_andn2_b64 s[10:11], s[98:99], exec
	s_and_b64 s[8:9], s[8:9], exec
	s_or_b64 s[98:99], s[10:11], s[8:9]
	s_andn2_b64 s[8:9], s[68:69], exec
	s_and_b64 s[6:7], s[6:7], exec
	;; [unrolled: 3-line block ×3, first 2 shown]
	s_or_b64 s[38:39], s[6:7], s[4:5]
	s_andn2_b64 exec, exec, s[96:97]
	s_cbranch_execz .LBB6_62
.LBB6_52:                               ;   Parent Loop BB6_3 Depth=1
                                        ; =>  This Inner Loop Header: Depth=2
	global_load_dword v42, v[76:77], off
	s_mov_b64 s[64:65], -1
	s_mov_b64 s[10:11], -1
                                        ; implicit-def: $sgpr6_sgpr7
                                        ; implicit-def: $sgpr4_sgpr5
	s_waitcnt vmcnt(0)
	v_lshl_add_u32 v0, v42, 2, v47
	buffer_load_dword v0, v0, s[0:3], 0 offen
	s_waitcnt vmcnt(0)
	v_cmp_ne_u32_e32 vcc, v0, v40
	s_and_saveexec_b64 s[66:67], vcc
	s_cbranch_execz .LBB6_60
; %bb.53:                               ;   in Loop: Header=BB6_52 Depth=2
	s_mov_b32 s6, 0
	v_readlane_b32 s8, v92, 19
	v_mov_b32_e32 v1, s6
	s_mov_b64 s[6:7], src_private_base
	v_readlane_b32 s10, v92, 21
	v_readlane_b32 s11, v92, 22
	v_mov_b32_e32 v0, v42
	v_mov_b32_e32 v2, s7
	;; [unrolled: 1-line block ×6, first 2 shown]
	s_getpc_b64 s[4:5]
	s_add_u32 s4, s4, _Z4EvaliPiiPN2rw7LibraryEi@rel32@lo+4
	s_addc_u32 s5, s5, _Z4EvaliPiiPN2rw7LibraryEi@rel32@hi+12
	v_readlane_b32 s9, v92, 20
	s_swappc_b64 s[30:31], s[4:5]
	v_lshl_add_u32 v1, v42, 2, v57
	buffer_load_dword v1, v1, s[0:3], 0 offen
	s_mov_b64 s[6:7], 0
	s_mov_b64 s[10:11], 0
	s_waitcnt vmcnt(0)
	v_cmp_ne_u32_e32 vcc, -1, v1
	s_and_saveexec_b64 s[8:9], vcc
	s_cbranch_execz .LBB6_59
; %bb.54:                               ;   in Loop: Header=BB6_52 Depth=2
	v_sub_u32_e32 v0, v41, v0
	v_readlane_b32 s4, v92, 2
	v_or_b32_e32 v2, s4, v0
	v_cmp_ne_u32_e32 vcc, 0, v2
	v_max_i32_e32 v2, 0, v78
	v_cmp_le_i32_e64 s[4:5], v2, v0
	s_and_b64 s[4:5], s[4:5], vcc
	s_and_saveexec_b64 s[10:11], s[4:5]
	s_cbranch_execz .LBB6_58
; %bb.55:                               ;   in Loop: Header=BB6_52 Depth=2
	v_cmp_ne_u32_e32 vcc, v0, v78
	v_cmp_lt_i32_e64 s[4:5], v1, v88
	s_or_b64 s[12:13], vcc, s[4:5]
	s_and_saveexec_b64 s[4:5], s[12:13]
; %bb.56:                               ;   in Loop: Header=BB6_52 Depth=2
	v_mov_b32_e32 v60, s59
	v_mov_b32_e32 v56, s72
	;; [unrolled: 1-line block ×4, first 2 shown]
; %bb.57:                               ;   in Loop: Header=BB6_52 Depth=2
	s_or_b64 exec, exec, s[4:5]
.LBB6_58:                               ;   in Loop: Header=BB6_52 Depth=2
	s_or_b64 exec, exec, s[10:11]
	s_mov_b64 s[10:11], exec
.LBB6_59:                               ;   in Loop: Header=BB6_52 Depth=2
	s_or_b64 exec, exec, s[8:9]
	s_mov_b64 s[4:5], -1
	s_orn2_b64 s[10:11], s[10:11], exec
.LBB6_60:                               ;   in Loop: Header=BB6_52 Depth=2
	s_or_b64 exec, exec, s[66:67]
	s_mov_b64 s[8:9], s[4:5]
	s_and_saveexec_b64 s[12:13], s[10:11]
	s_cbranch_execz .LBB6_51
; %bb.61:                               ;   in Loop: Header=BB6_52 Depth=2
	v_add_co_u32_e32 v76, vcc, 4, v76
	s_add_i32 s72, s72, 1
	v_addc_co_u32_e32 v77, vcc, 0, v77, vcc
	v_cmp_eq_u32_e32 vcc, s72, v63
	s_add_i32 s86, s86, -1
	s_andn2_b64 s[8:9], s[4:5], exec
	s_orn2_b64 s[64:65], vcc, exec
	s_branch .LBB6_51
.LBB6_62:                               ;   in Loop: Header=BB6_3 Depth=1
	s_or_b64 exec, exec, s[96:97]
	s_and_b64 s[6:7], s[38:39], exec
	s_and_b64 s[4:5], s[68:69], exec
	s_orn2_b64 s[8:9], s[98:99], exec
.LBB6_63:                               ;   in Loop: Header=BB6_3 Depth=1
	s_or_b64 exec, exec, s[94:95]
	s_mov_b64 s[10:11], s[84:85]
	s_and_saveexec_b64 s[12:13], s[8:9]
	s_cbranch_execz .LBB6_65
; %bb.64:                               ;   in Loop: Header=BB6_3 Depth=1
	global_load_dword v0, v[74:75], off offset:20
	v_lshlrev_b32_e32 v1, 27, v91
	s_mov_b32 s8, 0x87ffffff
	s_andn2_b64 s[6:7], s[6:7], exec
	s_andn2_b64 s[4:5], s[4:5], exec
	s_or_b64 s[10:11], s[84:85], exec
	s_waitcnt vmcnt(0)
	v_and_or_b32 v0, v0, s8, v1
	global_store_dword v[74:75], v0, off offset:20
.LBB6_65:                               ;   in Loop: Header=BB6_3 Depth=1
	s_or_b64 exec, exec, s[12:13]
	s_andn2_b64 s[8:9], s[90:91], exec
	s_and_b64 s[6:7], s[6:7], exec
	s_or_b64 s[90:91], s[8:9], s[6:7]
	s_andn2_b64 s[6:7], s[88:89], exec
	s_and_b64 s[4:5], s[4:5], exec
	s_or_b64 s[88:89], s[6:7], s[4:5]
	;; [unrolled: 3-line block ×3, first 2 shown]
.LBB6_66:                               ;   in Loop: Header=BB6_3 Depth=1
	s_or_b64 exec, exec, s[92:93]
	s_andn2_b64 s[10:11], s[84:85], exec
	s_and_b64 s[4:5], s[4:5], exec
	s_and_b64 s[8:9], s[90:91], exec
	;; [unrolled: 1-line block ×3, first 2 shown]
	s_or_b64 s[84:85], s[10:11], s[4:5]
.LBB6_67:                               ;   in Loop: Header=BB6_3 Depth=1
	v_readlane_b32 s4, v92, 25
	v_readlane_b32 s5, v92, 26
	s_or_b64 exec, exec, s[4:5]
	s_and_b64 s[10:11], s[8:9], exec
	s_and_b64 s[8:9], s[6:7], exec
	s_orn2_b64 s[4:5], s[84:85], exec
.LBB6_68:                               ;   in Loop: Header=BB6_3 Depth=1
	s_or_b64 exec, exec, s[82:83]
	s_andn2_b64 s[12:13], s[80:81], exec
	s_and_b64 s[10:11], s[10:11], exec
	s_or_b64 s[80:81], s[12:13], s[10:11]
	s_andn2_b64 s[10:11], s[78:79], exec
	s_and_b64 s[8:9], s[8:9], exec
	s_mov_b64 s[6:7], -1
	s_or_b64 s[78:79], s[10:11], s[8:9]
	s_and_saveexec_b64 s[8:9], s[4:5]
	s_cbranch_execz .LBB6_2
; %bb.69:                               ;   in Loop: Header=BB6_3 Depth=1
	s_add_i32 s59, s59, 1
	s_cmp_eq_u32 s59, 8
	s_cselect_b64 s[4:5], -1, 0
	s_andn2_b64 s[80:81], s[80:81], exec
	s_andn2_b64 s[78:79], s[78:79], exec
	s_orn2_b64 s[6:7], s[4:5], exec
	s_branch .LBB6_2
.LBB6_70:
	s_or_b64 exec, exec, s[70:71]
	s_xor_b64 s[4:5], s[76:77], -1
	s_xor_b64 s[6:7], s[74:75], -1
	s_mov_b64 s[28:29], 0
	s_and_saveexec_b64 s[8:9], s[6:7]
	v_readlane_b32 s34, v92, 0
	s_xor_b64 s[26:27], exec, s[8:9]
	v_readlane_b32 s35, v92, 1
	s_cbranch_execnz .LBB6_75
; %bb.71:
	s_andn2_saveexec_b64 s[26:27], s[26:27]
	s_cbranch_execnz .LBB6_84
.LBB6_72:
	s_or_b64 exec, exec, s[26:27]
	s_and_b64 exec, exec, s[28:29]
.LBB6_73:
	; divergent unreachable
.LBB6_74:
	s_endpgm
.LBB6_75:
	s_and_saveexec_b64 s[6:7], s[4:5]
	s_xor_b64 s[4:5], exec, s[6:7]
	s_cbranch_execz .LBB6_81
; %bb.76:
	v_cmp_ne_u32_e32 vcc, -1, v60
	s_and_saveexec_b64 s[6:7], vcc
	s_xor_b64 s[6:7], exec, s[6:7]
	s_cbranch_execz .LBB6_78
; %bb.77:
	v_add_u32_e32 v0, v60, v45
	v_mad_i64_i32 v[8:9], s[8:9], v0, 28, s[52:53]
	global_load_dwordx4 v[0:3], v[8:9], off offset:12
	global_load_dwordx4 v[4:7], v[8:9], off
	v_ashrrev_i32_e32 v45, 31, v44
	v_lshlrev_b64 v[10:11], 2, v[44:45]
	v_mad_i64_i32 v[8:9], s[8:9], v44, 28, s[54:55]
	v_mov_b32_e32 v13, s41
	v_add_co_u32_e32 v10, vcc, s40, v10
	v_mov_b32_e32 v12, 1
	v_addc_co_u32_e32 v11, vcc, v13, v11, vcc
                                        ; implicit-def: $vgpr44
	s_waitcnt vmcnt(1)
	global_store_dwordx4 v[8:9], v[0:3], off offset:40
	s_waitcnt vmcnt(1)
	global_store_dwordx4 v[8:9], v[4:7], off offset:28
	global_store_byte v[8:9], v12, off offset:52
	global_store_dword v[10:11], v56, off offset:4
.LBB6_78:
	s_andn2_saveexec_b64 s[6:7], s[6:7]
	s_cbranch_execz .LBB6_80
; %bb.79:
	v_mad_i64_i32 v[0:1], s[8:9], v44, 28, s[54:55]
	v_mov_b32_e32 v2, 0
	global_store_byte v[0:1], v2, off offset:52
.LBB6_80:
	s_or_b64 exec, exec, s[6:7]
.LBB6_81:
	s_or_saveexec_b64 s[28:29], s[4:5]
	s_mov_b64 s[4:5], 0
	s_xor_b64 exec, exec, s[28:29]
	s_cbranch_execz .LBB6_83
; %bb.82:
	s_add_u32 s8, s34, 0x68
	s_addc_u32 s9, s35, 0
	s_getpc_b64 s[4:5]
	s_add_u32 s4, s4, .str.2@rel32@lo+4
	s_addc_u32 s5, s5, .str.2@rel32@hi+12
	s_getpc_b64 s[6:7]
	s_add_u32 s6, s6, __PRETTY_FUNCTION__._Z12EvaluateNodeiPiS_S_S_S_S_PN2rw3CutES2_S_PNS0_7LibraryEPNS0_9TableNodeEi@rel32@lo+4
	s_addc_u32 s7, s7, __PRETTY_FUNCTION__._Z12EvaluateNodeiPiS_S_S_S_S_PN2rw3CutES2_S_PNS0_7LibraryEPNS0_9TableNodeEi@rel32@hi+12
	v_mov_b32_e32 v0, s4
	v_mov_b32_e32 v1, s5
	;; [unrolled: 1-line block ×5, first 2 shown]
	s_getpc_b64 s[10:11]
	s_add_u32 s10, s10, __assert_fail@rel32@lo+4
	s_addc_u32 s11, s11, __assert_fail@rel32@hi+12
	s_swappc_b64 s[30:31], s[10:11]
	s_mov_b64 s[4:5], exec
.LBB6_83:
	s_or_b64 exec, exec, s[28:29]
	s_and_b64 s[28:29], s[4:5], exec
	s_andn2_saveexec_b64 s[26:27], s[26:27]
	s_cbranch_execz .LBB6_72
.LBB6_84:
	s_add_u32 s8, s34, 0x68
	s_addc_u32 s9, s35, 0
	s_getpc_b64 s[4:5]
	s_add_u32 s4, s4, .str@rel32@lo+4
	s_addc_u32 s5, s5, .str@rel32@hi+12
	s_getpc_b64 s[6:7]
	s_add_u32 s6, s6, __PRETTY_FUNCTION__._Z12EvaluateNodeiPiS_S_S_S_S_PN2rw3CutES2_S_PNS0_7LibraryEPNS0_9TableNodeEi@rel32@lo+4
	s_addc_u32 s7, s7, __PRETTY_FUNCTION__._Z12EvaluateNodeiPiS_S_S_S_S_PN2rw3CutES2_S_PNS0_7LibraryEPNS0_9TableNodeEi@rel32@hi+12
	v_mov_b32_e32 v0, s4
	v_mov_b32_e32 v1, s5
	;; [unrolled: 1-line block ×5, first 2 shown]
	s_getpc_b64 s[10:11]
	s_add_u32 s10, s10, __assert_fail@rel32@lo+4
	s_addc_u32 s11, s11, __assert_fail@rel32@hi+12
	s_swappc_b64 s[30:31], s[10:11]
	s_or_b64 s[28:29], s[28:29], exec
	s_or_b64 exec, exec, s[26:27]
	s_and_b64 exec, exec, s[28:29]
	s_cbranch_execnz .LBB6_73
	s_branch .LBB6_74
	.section	.rodata,"a",@progbits
	.p2align	6, 0x0
	.amdhsa_kernel _Z12EvaluateNodeiPiS_S_S_S_S_PN2rw3CutES2_S_PNS0_7LibraryEPNS0_9TableNodeEi
		.amdhsa_group_segment_fixed_size 32768
		.amdhsa_private_segment_fixed_size 576
		.amdhsa_kernarg_size 360
		.amdhsa_user_sgpr_count 10
		.amdhsa_user_sgpr_private_segment_buffer 1
		.amdhsa_user_sgpr_dispatch_ptr 1
		.amdhsa_user_sgpr_queue_ptr 0
		.amdhsa_user_sgpr_kernarg_segment_ptr 1
		.amdhsa_user_sgpr_dispatch_id 0
		.amdhsa_user_sgpr_flat_scratch_init 1
		.amdhsa_user_sgpr_kernarg_preload_length 0
		.amdhsa_user_sgpr_kernarg_preload_offset 0
		.amdhsa_user_sgpr_private_segment_size 0
		.amdhsa_uses_dynamic_stack 1
		.amdhsa_system_sgpr_private_segment_wavefront_offset 1
		.amdhsa_system_sgpr_workgroup_id_x 1
		.amdhsa_system_sgpr_workgroup_id_y 0
		.amdhsa_system_sgpr_workgroup_id_z 0
		.amdhsa_system_sgpr_workgroup_info 0
		.amdhsa_system_vgpr_workitem_id 2
		.amdhsa_next_free_vgpr 136
		.amdhsa_next_free_sgpr 100
		.amdhsa_accum_offset 96
		.amdhsa_reserve_vcc 1
		.amdhsa_reserve_flat_scratch 1
		.amdhsa_float_round_mode_32 0
		.amdhsa_float_round_mode_16_64 0
		.amdhsa_float_denorm_mode_32 3
		.amdhsa_float_denorm_mode_16_64 3
		.amdhsa_dx10_clamp 1
		.amdhsa_ieee_mode 1
		.amdhsa_fp16_overflow 0
		.amdhsa_tg_split 0
		.amdhsa_exception_fp_ieee_invalid_op 0
		.amdhsa_exception_fp_denorm_src 0
		.amdhsa_exception_fp_ieee_div_zero 0
		.amdhsa_exception_fp_ieee_overflow 0
		.amdhsa_exception_fp_ieee_underflow 0
		.amdhsa_exception_fp_ieee_inexact 0
		.amdhsa_exception_int_div_zero 0
	.end_amdhsa_kernel
	.text
.Lfunc_end6:
	.size	_Z12EvaluateNodeiPiS_S_S_S_S_PN2rw3CutES2_S_PNS0_7LibraryEPNS0_9TableNodeEi, .Lfunc_end6-_Z12EvaluateNodeiPiS_S_S_S_S_PN2rw3CutES2_S_PNS0_7LibraryEPNS0_9TableNodeEi
                                        ; -- End function
	.section	.AMDGPU.csdata,"",@progbits
; Kernel info:
; codeLenInByte = 5756
; NumSgprs: 106
; NumVgprs: 93
; NumAgprs: 40
; TotalNumVgprs: 136
; ScratchSize: 576
; MemoryBound: 0
; FloatMode: 240
; IeeeMode: 1
; LDSByteSize: 32768 bytes/workgroup (compile time only)
; SGPRBlocks: 13
; VGPRBlocks: 16
; NumSGPRsForWavesPerEU: 106
; NumVGPRsForWavesPerEU: 136
; AccumOffset: 96
; Occupancy: 3
; WaveLimiterHint : 1
; COMPUTE_PGM_RSRC2:SCRATCH_EN: 1
; COMPUTE_PGM_RSRC2:USER_SGPR: 10
; COMPUTE_PGM_RSRC2:TRAP_HANDLER: 0
; COMPUTE_PGM_RSRC2:TGID_X_EN: 1
; COMPUTE_PGM_RSRC2:TGID_Y_EN: 0
; COMPUTE_PGM_RSRC2:TGID_Z_EN: 0
; COMPUTE_PGM_RSRC2:TIDIG_COMP_CNT: 2
; COMPUTE_PGM_RSRC3_GFX90A:ACCUM_OFFSET: 23
; COMPUTE_PGM_RSRC3_GFX90A:TG_SPLIT: 0
	.text
	.protected	_Z14BuildHashTablePN2rw9TableNodeEiPiS2_S2_S2_ ; -- Begin function _Z14BuildHashTablePN2rw9TableNodeEiPiS2_S2_S2_
	.globl	_Z14BuildHashTablePN2rw9TableNodeEiPiS2_S2_S2_
	.p2align	8
	.type	_Z14BuildHashTablePN2rw9TableNodeEiPiS2_S2_S2_,@function
_Z14BuildHashTablePN2rw9TableNodeEiPiS2_S2_S2_: ; @_Z14BuildHashTablePN2rw9TableNodeEiPiS2_S2_S2_
; %bb.0:
	s_load_dword s0, s[4:5], 0x3c
	s_load_dword s1, s[4:5], 0x8
	s_waitcnt lgkmcnt(0)
	s_and_b32 s0, s0, 0xffff
	s_mul_i32 s6, s6, s0
	v_add_u32_e32 v0, s6, v0
	v_cmp_gt_i32_e32 vcc, s1, v0
	s_and_saveexec_b64 s[0:1], vcc
	s_cbranch_execz .LBB7_8
; %bb.1:
	s_load_dwordx8 s[8:15], s[4:5], 0x10
	v_ashrrev_i32_e32 v1, 31, v0
	v_lshlrev_b64 v[2:3], 2, v[0:1]
	s_waitcnt lgkmcnt(0)
	v_mov_b32_e32 v1, s9
	v_add_co_u32_e32 v4, vcc, s8, v2
	v_addc_co_u32_e32 v5, vcc, v1, v3, vcc
	global_load_dword v1, v[4:5], off offset:4
	v_mov_b32_e32 v5, s11
	v_add_co_u32_e32 v4, vcc, s10, v2
	v_addc_co_u32_e32 v5, vcc, v5, v3, vcc
	global_load_dword v4, v[4:5], off offset:4
	s_waitcnt vmcnt(0)
	v_or_b32_e32 v5, v1, v4
	v_cmp_ne_u32_e32 vcc, 0, v5
	s_and_b64 exec, exec, vcc
	s_cbranch_execz .LBB7_8
; %bb.2:
	v_mov_b32_e32 v5, s13
	v_add_co_u32_e32 v6, vcc, s12, v2
	v_addc_co_u32_e32 v7, vcc, v5, v3, vcc
	global_load_dword v5, v[6:7], off offset:4
	v_mov_b32_e32 v6, s15
	v_add_co_u32_e32 v2, vcc, s14, v2
	v_addc_co_u32_e32 v3, vcc, v6, v3, vcc
	global_load_dword v2, v[2:3], off offset:4
	s_getpc_b64 s[0:1]
	s_add_u32 s0, s0, P@rel32@lo+4
	s_addc_u32 s1, s1, P@rel32@hi+12
	s_load_dwordx2 s[0:1], s[0:1], 0x0
	s_movk_i32 s2, 0x1f01
	s_movk_i32 s3, 0xb9b
	;; [unrolled: 1-line block ×3, first 2 shown]
	v_mul_lo_u32 v1, v1, s2
	s_waitcnt lgkmcnt(0)
	s_load_dword s8, s[0:1], 0x0
	v_mul_lo_u32 v3, v4, s3
	s_movk_i32 s0, 0x161
	v_xor_b32_e32 v1, v3, v1
	v_mov_b32_e32 v4, 0
	s_waitcnt lgkmcnt(0)
	s_ashr_i32 s9, s8, 31
	s_waitcnt vmcnt(1)
	v_mul_lo_u32 v3, v5, s6
	v_xor_b32_e32 v1, v1, v3
	s_waitcnt vmcnt(0)
	v_mul_lo_u32 v2, v2, s0
	v_xor_b32_e32 v2, v1, v2
	v_ashrrev_i32_e32 v1, 31, v2
	v_or_b32_e32 v5, s9, v1
	v_cmp_ne_u64_e32 vcc, 0, v[4:5]
                                        ; implicit-def: $vgpr4_vgpr5
	s_and_saveexec_b64 s[0:1], vcc
	s_xor_b64 s[6:7], exec, s[0:1]
	s_cbranch_execz .LBB7_4
; %bb.3:
	v_cvt_f32_u32_e32 v3, s8
	v_cvt_f32_u32_e32 v4, s9
	s_sub_u32 s0, 0, s8
	s_subb_u32 s1, 0, s9
	v_madmk_f32 v3, v4, 0x4f800000, v3
	v_rcp_f32_e32 v3, v3
	v_mul_f32_e32 v3, 0x5f7ffffc, v3
	v_mul_f32_e32 v4, 0x2f800000, v3
	v_trunc_f32_e32 v4, v4
	v_madmk_f32 v3, v4, 0xcf800000, v3
	v_cvt_u32_f32_e32 v4, v4
	v_cvt_u32_f32_e32 v3, v3
	v_mul_lo_u32 v5, s0, v4
	v_mul_hi_u32 v7, s0, v3
	v_mul_lo_u32 v6, s1, v3
	v_add_u32_e32 v5, v7, v5
	v_mul_lo_u32 v8, s0, v3
	v_add_u32_e32 v5, v5, v6
	v_mul_hi_u32 v7, v3, v8
	v_mul_lo_u32 v9, v3, v5
	v_mul_hi_u32 v6, v3, v5
	v_add_co_u32_e32 v7, vcc, v7, v9
	v_addc_co_u32_e32 v6, vcc, 0, v6, vcc
	v_mul_hi_u32 v10, v4, v8
	v_mul_lo_u32 v8, v4, v8
	v_add_co_u32_e32 v7, vcc, v7, v8
	v_mul_hi_u32 v9, v4, v5
	v_addc_co_u32_e32 v6, vcc, v6, v10, vcc
	v_addc_co_u32_e32 v7, vcc, 0, v9, vcc
	v_mul_lo_u32 v5, v4, v5
	v_add_co_u32_e32 v5, vcc, v6, v5
	v_addc_co_u32_e32 v6, vcc, 0, v7, vcc
	v_add_co_u32_e32 v3, vcc, v3, v5
	v_addc_co_u32_e32 v4, vcc, v4, v6, vcc
	v_mul_lo_u32 v5, s0, v4
	v_mul_hi_u32 v6, s0, v3
	v_add_u32_e32 v5, v6, v5
	v_mul_lo_u32 v6, s1, v3
	v_add_u32_e32 v5, v5, v6
	v_mul_lo_u32 v7, s0, v3
	v_mul_hi_u32 v8, v4, v7
	v_mul_lo_u32 v9, v4, v7
	v_mul_lo_u32 v11, v3, v5
	v_mul_hi_u32 v7, v3, v7
	v_mul_hi_u32 v10, v3, v5
	v_add_co_u32_e32 v7, vcc, v7, v11
	v_addc_co_u32_e32 v10, vcc, 0, v10, vcc
	v_add_co_u32_e32 v7, vcc, v7, v9
	v_mul_hi_u32 v6, v4, v5
	v_addc_co_u32_e32 v7, vcc, v10, v8, vcc
	v_addc_co_u32_e32 v6, vcc, 0, v6, vcc
	v_mul_lo_u32 v5, v4, v5
	v_add_co_u32_e32 v5, vcc, v7, v5
	v_addc_co_u32_e32 v6, vcc, 0, v6, vcc
	v_add_co_u32_e32 v3, vcc, v3, v5
	v_addc_co_u32_e32 v6, vcc, v4, v6, vcc
	v_mad_u64_u32 v[4:5], s[0:1], v2, v6, 0
	v_mul_hi_u32 v7, v2, v3
	v_add_co_u32_e32 v8, vcc, v7, v4
	v_addc_co_u32_e32 v9, vcc, 0, v5, vcc
	v_mad_u64_u32 v[4:5], s[0:1], v1, v6, 0
	v_mad_u64_u32 v[6:7], s[0:1], v1, v3, 0
	v_add_co_u32_e32 v3, vcc, v8, v6
	v_addc_co_u32_e32 v3, vcc, v9, v7, vcc
	v_addc_co_u32_e32 v5, vcc, 0, v5, vcc
	v_add_co_u32_e32 v3, vcc, v3, v4
	v_addc_co_u32_e32 v4, vcc, 0, v5, vcc
	v_mul_lo_u32 v6, s9, v3
	v_mul_lo_u32 v7, s8, v4
	v_mad_u64_u32 v[4:5], s[0:1], s8, v3, 0
	v_add3_u32 v3, v5, v7, v6
	v_sub_u32_e32 v5, v1, v3
	v_mov_b32_e32 v6, s9
	v_sub_co_u32_e32 v2, vcc, v2, v4
	v_subb_co_u32_e64 v4, s[0:1], v5, v6, vcc
	v_subrev_co_u32_e64 v7, s[0:1], s8, v2
	v_subbrev_co_u32_e64 v5, s[2:3], 0, v4, s[0:1]
	v_cmp_le_u32_e64 s[2:3], s9, v5
	v_cndmask_b32_e64 v8, 0, -1, s[2:3]
	v_cmp_le_u32_e64 s[2:3], s8, v7
	v_subb_co_u32_e64 v4, s[0:1], v4, v6, s[0:1]
	v_cndmask_b32_e64 v9, 0, -1, s[2:3]
	v_cmp_eq_u32_e64 s[2:3], s9, v5
	v_subrev_co_u32_e64 v6, s[0:1], s8, v7
	v_subb_co_u32_e32 v1, vcc, v1, v3, vcc
	v_cndmask_b32_e64 v8, v8, v9, s[2:3]
	v_subbrev_co_u32_e64 v4, s[0:1], 0, v4, s[0:1]
	v_cmp_le_u32_e32 vcc, s9, v1
	v_cmp_ne_u32_e64 s[0:1], 0, v8
	v_cndmask_b32_e64 v3, 0, -1, vcc
	v_cmp_le_u32_e32 vcc, s8, v2
	v_cndmask_b32_e64 v4, v5, v4, s[0:1]
	v_cndmask_b32_e64 v5, 0, -1, vcc
	v_cmp_eq_u32_e32 vcc, s9, v1
	v_cndmask_b32_e32 v3, v3, v5, vcc
	v_cmp_ne_u32_e32 vcc, 0, v3
	v_cndmask_b32_e32 v5, v1, v4, vcc
	v_cndmask_b32_e64 v1, v7, v6, s[0:1]
	v_cndmask_b32_e32 v4, v2, v1, vcc
                                        ; implicit-def: $vgpr2_vgpr3
.LBB7_4:
	s_andn2_saveexec_b64 s[0:1], s[6:7]
	s_cbranch_execz .LBB7_6
; %bb.5:
	v_cvt_f32_u32_e32 v1, s8
	s_sub_i32 s2, 0, s8
	v_mov_b32_e32 v5, 0
	v_rcp_iflag_f32_e32 v1, v1
	v_mul_f32_e32 v1, 0x4f7ffffe, v1
	v_cvt_u32_f32_e32 v1, v1
	v_mul_lo_u32 v3, s2, v1
	v_mul_hi_u32 v3, v1, v3
	v_add_u32_e32 v1, v1, v3
	v_mul_hi_u32 v1, v2, v1
	v_mul_lo_u32 v1, v1, s8
	v_sub_u32_e32 v1, v2, v1
	v_subrev_u32_e32 v2, s8, v1
	v_cmp_le_u32_e32 vcc, s8, v1
	v_cndmask_b32_e32 v1, v1, v2, vcc
	v_subrev_u32_e32 v2, s8, v1
	v_cmp_le_u32_e32 vcc, s8, v1
	v_cndmask_b32_e32 v4, v1, v2, vcc
.LBB7_6:
	s_or_b64 exec, exec, s[0:1]
	s_load_dwordx2 s[0:1], s[4:5], 0x0
	v_add_u32_e32 v2, s8, v0
	v_ashrrev_i32_e32 v3, 31, v2
	v_lshlrev_b64 v[2:3], 3, v[2:3]
	v_add_u32_e32 v1, 1, v0
	s_waitcnt lgkmcnt(0)
	v_mov_b32_e32 v6, s1
	v_add_co_u32_e32 v2, vcc, s0, v2
	v_addc_co_u32_e32 v3, vcc, v6, v3, vcc
	global_store_dword v[2:3], v1, off
	s_mov_b64 s[2:3], 0
	v_mov_b32_e32 v1, s1
	v_mov_b32_e32 v6, 0
	v_mov_b32_e32 v3, -1
	s_getpc_b64 s[4:5]
	s_add_u32 s4, s4, P@rel32@lo+4
	s_addc_u32 s5, s5, P@rel32@hi+12
.LBB7_7:                                ; =>This Inner Loop Header: Depth=1
	global_load_dwordx2 v[8:9], v6, s[4:5]
	v_lshlrev_b64 v[4:5], 3, v[4:5]
	v_add_co_u32_e32 v4, vcc, s0, v4
	v_addc_co_u32_e32 v5, vcc, v1, v5, vcc
	s_waitcnt vmcnt(0)
	global_load_dword v2, v[8:9], off
	s_waitcnt vmcnt(0)
	v_add_u32_e32 v2, v2, v0
	global_atomic_cmpswap v4, v[4:5], v[2:3], off offset:4 glc
	s_waitcnt vmcnt(0)
	v_cmp_eq_u32_e32 vcc, -1, v4
	s_or_b64 s[2:3], vcc, s[2:3]
	v_ashrrev_i32_e32 v5, 31, v4
	s_andn2_b64 exec, exec, s[2:3]
	s_cbranch_execnz .LBB7_7
.LBB7_8:
	s_endpgm
	.section	.rodata,"a",@progbits
	.p2align	6, 0x0
	.amdhsa_kernel _Z14BuildHashTablePN2rw9TableNodeEiPiS2_S2_S2_
		.amdhsa_group_segment_fixed_size 0
		.amdhsa_private_segment_fixed_size 0
		.amdhsa_kernarg_size 304
		.amdhsa_user_sgpr_count 6
		.amdhsa_user_sgpr_private_segment_buffer 1
		.amdhsa_user_sgpr_dispatch_ptr 0
		.amdhsa_user_sgpr_queue_ptr 0
		.amdhsa_user_sgpr_kernarg_segment_ptr 1
		.amdhsa_user_sgpr_dispatch_id 0
		.amdhsa_user_sgpr_flat_scratch_init 0
		.amdhsa_user_sgpr_kernarg_preload_length 0
		.amdhsa_user_sgpr_kernarg_preload_offset 0
		.amdhsa_user_sgpr_private_segment_size 0
		.amdhsa_uses_dynamic_stack 0
		.amdhsa_system_sgpr_private_segment_wavefront_offset 0
		.amdhsa_system_sgpr_workgroup_id_x 1
		.amdhsa_system_sgpr_workgroup_id_y 0
		.amdhsa_system_sgpr_workgroup_id_z 0
		.amdhsa_system_sgpr_workgroup_info 0
		.amdhsa_system_vgpr_workitem_id 0
		.amdhsa_next_free_vgpr 12
		.amdhsa_next_free_sgpr 16
		.amdhsa_accum_offset 12
		.amdhsa_reserve_vcc 1
		.amdhsa_reserve_flat_scratch 0
		.amdhsa_float_round_mode_32 0
		.amdhsa_float_round_mode_16_64 0
		.amdhsa_float_denorm_mode_32 3
		.amdhsa_float_denorm_mode_16_64 3
		.amdhsa_dx10_clamp 1
		.amdhsa_ieee_mode 1
		.amdhsa_fp16_overflow 0
		.amdhsa_tg_split 0
		.amdhsa_exception_fp_ieee_invalid_op 0
		.amdhsa_exception_fp_denorm_src 0
		.amdhsa_exception_fp_ieee_div_zero 0
		.amdhsa_exception_fp_ieee_overflow 0
		.amdhsa_exception_fp_ieee_underflow 0
		.amdhsa_exception_fp_ieee_inexact 0
		.amdhsa_exception_int_div_zero 0
	.end_amdhsa_kernel
	.text
.Lfunc_end7:
	.size	_Z14BuildHashTablePN2rw9TableNodeEiPiS2_S2_S2_, .Lfunc_end7-_Z14BuildHashTablePN2rw9TableNodeEiPiS2_S2_S2_
                                        ; -- End function
	.section	.AMDGPU.csdata,"",@progbits
; Kernel info:
; codeLenInByte = 1196
; NumSgprs: 20
; NumVgprs: 12
; NumAgprs: 0
; TotalNumVgprs: 12
; ScratchSize: 0
; MemoryBound: 0
; FloatMode: 240
; IeeeMode: 1
; LDSByteSize: 0 bytes/workgroup (compile time only)
; SGPRBlocks: 2
; VGPRBlocks: 1
; NumSGPRsForWavesPerEU: 20
; NumVGPRsForWavesPerEU: 12
; AccumOffset: 12
; Occupancy: 8
; WaveLimiterHint : 1
; COMPUTE_PGM_RSRC2:SCRATCH_EN: 0
; COMPUTE_PGM_RSRC2:USER_SGPR: 6
; COMPUTE_PGM_RSRC2:TRAP_HANDLER: 0
; COMPUTE_PGM_RSRC2:TGID_X_EN: 1
; COMPUTE_PGM_RSRC2:TGID_Y_EN: 0
; COMPUTE_PGM_RSRC2:TGID_Z_EN: 0
; COMPUTE_PGM_RSRC2:TIDIG_COMP_CNT: 0
; COMPUTE_PGM_RSRC3_GFX90A:ACCUM_OFFSET: 2
; COMPUTE_PGM_RSRC3_GFX90A:TG_SPLIT: 0
	.text
	.p2align	2                               ; -- Begin function _Z10BuildSubgriiPN2rw7LibraryEPimS2_S2_S2_S2_S2_PNS_9TableNodeEi
	.type	_Z10BuildSubgriiPN2rw7LibraryEPimS2_S2_S2_S2_S2_PNS_9TableNodeEi,@function
_Z10BuildSubgriiPN2rw7LibraryEPimS2_S2_S2_S2_S2_PNS_9TableNodeEi: ; @_Z10BuildSubgriiPN2rw7LibraryEPimS2_S2_S2_S2_S2_PNS_9TableNodeEi
; %bb.0:
	s_waitcnt vmcnt(0) expcnt(0) lgkmcnt(0)
	s_mov_b32 s4, s33
	s_mov_b32 s33, s32
	s_or_saveexec_b64 s[6:7], -1
	buffer_store_dword v63, off, s[0:3], s33 offset:108 ; 4-byte Folded Spill
	s_mov_b64 exec, s[6:7]
	v_writelane_b32 v63, s4, 6
	s_addk_i32 s32, 0x2000
	buffer_store_dword v40, off, s[0:3], s33 offset:104 ; 4-byte Folded Spill
	buffer_store_dword v41, off, s[0:3], s33 offset:100 ; 4-byte Folded Spill
	;; [unrolled: 1-line block ×26, first 2 shown]
	buffer_store_dword a43, off, s[0:3], s33 ; 4-byte Folded Spill
	v_writelane_b32 v63, s34, 0
	v_writelane_b32 v63, s35, 1
	;; [unrolled: 1-line block ×6, first 2 shown]
	v_mov_b32_e32 v45, v1
	v_ashrrev_i32_e32 v1, 31, v0
	v_mov_b32_e32 v42, v4
	v_mov_b32_e32 v57, v3
	;; [unrolled: 1-line block ×3, first 2 shown]
	v_lshlrev_b64 v[2:3], 2, v[0:1]
	v_mov_b32_e32 v43, v5
	v_add_co_u32_e32 v2, vcc, v42, v2
	v_addc_co_u32_e32 v3, vcc, v43, v3, vcc
	flat_load_dword v1, v[2:3]
	v_mov_b32_e32 v58, v19
	v_mov_b32_e32 v59, v18
	;; [unrolled: 1-line block ×5, first 2 shown]
	s_waitcnt vmcnt(0) lgkmcnt(0)
	v_cmp_eq_u32_e32 vcc, -1, v1
	s_and_saveexec_b64 s[34:35], vcc
	s_cbranch_execz .LBB8_36
; %bb.1:
	v_add_u32_e32 v0, -4, v0
	v_accvgpr_write_b32 a33, v3
	v_ashrrev_i32_e32 v1, 31, v0
	s_movk_i32 s4, 0xf0
	v_accvgpr_write_b32 a32, v2
	v_lshlrev_b64 v[0:1], 2, v[0:1]
	v_mad_i64_i32 v[2:3], s[4:5], v45, s4, v[56:57]
	v_add_co_u32_e32 v61, vcc, v2, v0
	v_addc_co_u32_e32 v62, vcc, v3, v1, vcc
	v_add_co_u32_e32 v0, vcc, 0xc4000, v61
	v_addc_co_u32_e32 v1, vcc, 0, v62, vcc
	flat_load_dword v46, v[0:1] offset:3536
	v_add_co_u32_e32 v0, vcc, 0xd1000, v61
	v_addc_co_u32_e32 v1, vcc, 0, v62, vcc
	flat_load_dword v44, v[0:1] offset:3568
	v_mov_b32_e32 v1, v45
	v_mov_b32_e32 v2, v56
	;; [unrolled: 1-line block ×10, first 2 shown]
	s_getpc_b64 s[36:37]
	s_add_u32 s36, s36, _Z10BuildSubgriiPN2rw7LibraryEPimS2_S2_S2_S2_S2_PNS_9TableNodeEi@rel32@lo+4
	s_addc_u32 s37, s37, _Z10BuildSubgriiPN2rw7LibraryEPimS2_S2_S2_S2_S2_PNS_9TableNodeEi@rel32@hi+12
	v_mov_b32_e32 v47, v15
	v_accvgpr_write_b32 a43, v17
	v_accvgpr_write_b32 a34, v14
	v_accvgpr_write_b32 a35, v13
	v_accvgpr_write_b32 a36, v12
	v_accvgpr_write_b32 a37, v11
	v_accvgpr_write_b32 a38, v10
	v_accvgpr_write_b32 a39, v9
	v_accvgpr_write_b32 a40, v8
	v_accvgpr_write_b32 a42, v20
	s_waitcnt vmcnt(0) lgkmcnt(0)
	v_mov_b32_e32 v0, v46
	s_swappc_b64 s[30:31], s[36:37]
	v_mov_b32_e32 v0, v44
	v_mov_b32_e32 v1, v45
	;; [unrolled: 1-line block ×8, first 2 shown]
	v_accvgpr_read_b32 v8, a40
	v_accvgpr_read_b32 v9, a39
	;; [unrolled: 1-line block ×7, first 2 shown]
	v_mov_b32_e32 v15, v47
	v_mov_b32_e32 v16, v60
	v_accvgpr_read_b32 v17, a43
	v_mov_b32_e32 v18, v59
	v_mov_b32_e32 v19, v58
	v_accvgpr_read_b32 v20, a42
	v_accvgpr_mov_b32 a41, a40
	v_accvgpr_mov_b32 a40, a39
	;; [unrolled: 1-line block ×6, first 2 shown]
	v_accvgpr_read_b32 v57, a34
	v_mov_b32_e32 v56, v47
	v_accvgpr_mov_b32 a35, a43
	v_accvgpr_mov_b32 a34, a42
	s_swappc_b64 s[30:31], s[36:37]
	s_mov_b64 s[4:5], exec
	v_mbcnt_lo_u32_b32 v0, s4, 0
	v_mbcnt_hi_u32_b32 v0, s5, v0
	v_cmp_eq_u32_e32 vcc, 0, v0
                                        ; implicit-def: $vgpr1
	s_and_saveexec_b64 s[6:7], vcc
	s_cbranch_execz .LBB8_3
; %bb.2:
	v_mov_b32_e32 v1, 0
	s_getpc_b64 s[8:9]
	s_add_u32 s8, s8, N@rel32@lo+4
	s_addc_u32 s9, s9, N@rel32@hi+12
	global_load_dwordx2 v[2:3], v1, s[8:9]
	s_bcnt1_i32_b64 s4, s[4:5]
	v_mov_b32_e32 v1, s4
	s_waitcnt vmcnt(0)
	global_atomic_add v1, v[2:3], v1, off glc
.LBB8_3:
	s_or_b64 exec, exec, s[6:7]
	v_ashrrev_i32_e32 v47, 31, v46
	v_lshlrev_b64 v[2:3], 2, v[46:47]
	v_add_co_u32_e32 v2, vcc, v42, v2
	v_addc_co_u32_e32 v3, vcc, v43, v3, vcc
	flat_load_dword v4, v[2:3]
	s_waitcnt vmcnt(0)
	v_readfirstlane_b32 s4, v1
	v_ashrrev_i32_e32 v45, 31, v44
	v_add_u32_e32 v8, s4, v0
	v_lshlrev_b64 v[0:1], 2, v[44:45]
	v_ashrrev_i32_e32 v9, 31, v8
	v_add_co_u32_e32 v2, vcc, v42, v0
	v_addc_co_u32_e32 v3, vcc, v43, v1, vcc
	v_lshlrev_b64 v[10:11], 2, v[8:9]
	v_accvgpr_read_b32 v30, a41
	v_add_co_u32_e32 v0, vcc, v30, v10
	v_accvgpr_read_b32 v29, a40
	v_addc_co_u32_e32 v1, vcc, v29, v11, vcc
	s_mov_b32 s4, 0xde000
	v_accvgpr_read_b32 v28, a39
	v_accvgpr_read_b32 v27, a38
	;; [unrolled: 1-line block ×4, first 2 shown]
	v_mov_b32_e32 v24, v57
	v_mov_b32_e32 v23, v56
	v_accvgpr_read_b32 v17, a35
	s_waitcnt lgkmcnt(0)
	flat_store_dword v[0:1], v4 offset:4
	flat_load_dword v6, v[2:3]
	v_add_co_u32_e32 v4, vcc, s4, v61
	v_addc_co_u32_e32 v5, vcc, 0, v62, vcc
	v_add_co_u32_e32 v2, vcc, v28, v10
	v_addc_co_u32_e32 v3, vcc, v27, v11, vcc
	s_mov_b32 s4, 0xeb000
	s_waitcnt vmcnt(0) lgkmcnt(0)
	flat_store_dword v[2:3], v6 offset:4
	flat_load_dword v9, v[4:5] offset:3600
	v_add_co_u32_e32 v6, vcc, s4, v61
	v_lshrrev_b64 v[4:5], v46, v[40:41]
	v_addc_co_u32_e32 v7, vcc, 0, v62, vcc
	v_and_b32_e32 v12, 1, v4
	v_add_co_u32_e32 v4, vcc, v26, v10
	v_addc_co_u32_e32 v5, vcc, v25, v11, vcc
	s_waitcnt vmcnt(0) lgkmcnt(0)
	v_xor_b32_e32 v9, v9, v12
	flat_store_dword v[4:5], v9 offset:4
	flat_load_dword v9, v[6:7] offset:3632
	v_lshrrev_b64 v[6:7], v44, v[40:41]
	v_and_b32_e32 v12, 1, v6
	v_add_co_u32_e32 v6, vcc, v24, v10
	v_addc_co_u32_e32 v7, vcc, v23, v11, vcc
	s_waitcnt vmcnt(0) lgkmcnt(0)
	v_xor_b32_e32 v9, v9, v12
	flat_store_dword v[6:7], v9 offset:4
	flat_load_dword v12, v[0:1] offset:4
	flat_load_dword v14, v[2:3] offset:4
	flat_load_dword v16, v[4:5] offset:4
	s_waitcnt vmcnt(0) lgkmcnt(0)
	v_ashrrev_i32_e32 v13, 31, v12
	v_lshlrev_b64 v[12:13], 2, v[12:13]
	v_ashrrev_i32_e32 v15, 31, v14
	v_add_co_u32_e32 v12, vcc, v60, v12
	v_lshlrev_b64 v[14:15], 2, v[14:15]
	v_addc_co_u32_e32 v13, vcc, v17, v13, vcc
	v_add_co_u32_e32 v14, vcc, v60, v14
	v_addc_co_u32_e32 v15, vcc, v17, v15, vcc
	flat_load_dword v12, v[12:13]
	s_nop 0
	flat_load_dword v13, v[14:15]
	v_add_co_u32_e32 v10, vcc, v60, v10
	v_addc_co_u32_e32 v11, vcc, v17, v11, vcc
	s_waitcnt vmcnt(0) lgkmcnt(0)
	v_xor_b32_e32 v12, v16, v12
	v_xor_b32_e32 v9, v13, v9
	v_and_b32_e32 v9, v9, v12
	flat_store_dword v[10:11], v9 offset:4
	flat_load_dword v10, v[0:1] offset:4
	s_nop 0
	flat_load_dword v11, v[2:3] offset:4
                                        ; implicit-def: $vgpr9
	s_waitcnt vmcnt(0) lgkmcnt(0)
	v_cmp_le_i32_e32 vcc, v10, v11
	s_and_saveexec_b64 s[4:5], vcc
	s_xor_b64 s[4:5], exec, s[4:5]
	s_cbranch_execz .LBB8_5
; %bb.4:
	flat_load_dword v9, v[6:7] offset:4
.LBB8_5:
	s_andn2_saveexec_b64 s[4:5], s[4:5]
	s_cbranch_execz .LBB8_7
; %bb.6:
	flat_store_dword v[0:1], v11 offset:4
	flat_store_dword v[2:3], v10 offset:4
	flat_load_dword v10, v[6:7] offset:4
	s_waitcnt vmcnt(0) lgkmcnt(0)
	flat_load_dword v9, v[4:5] offset:4
	s_nop 0
	flat_store_dword v[4:5], v10 offset:4
	s_waitcnt vmcnt(0) lgkmcnt(0)
	flat_store_dword v[6:7], v9 offset:4
	flat_load_dword v10, v[0:1] offset:4
	flat_load_dword v11, v[2:3] offset:4
.LBB8_7:
	s_or_b64 exec, exec, s[4:5]
	v_mov_b32_e32 v12, 0
	s_getpc_b64 s[4:5]
	s_add_u32 s4, s4, P@rel32@lo+4
	s_addc_u32 s5, s5, P@rel32@hi+12
	global_load_dwordx2 v[14:15], v12, s[4:5]
	flat_load_dword v13, v[4:5] offset:4
	s_movk_i32 s4, 0x1f01
	s_waitcnt vmcnt(0) lgkmcnt(0)
	v_mul_lo_u32 v10, v10, s4
	s_movk_i32 s4, 0xb9b
	v_mul_lo_u32 v11, v11, s4
	s_movk_i32 s4, 0x38f
	v_xor_b32_e32 v10, v11, v10
	global_load_dword v14, v[14:15], off
	v_mul_lo_u32 v11, v13, s4
	s_movk_i32 s4, 0x161
	v_xor_b32_e32 v10, v10, v11
	v_mul_lo_u32 v9, v9, s4
	v_xor_b32_e32 v10, v10, v9
	v_ashrrev_i32_e32 v9, 31, v10
	s_waitcnt vmcnt(0)
	v_ashrrev_i32_e32 v11, 31, v14
	v_or_b32_e32 v13, v9, v11
	v_cmp_ne_u64_e32 vcc, 0, v[12:13]
                                        ; implicit-def: $vgpr12_vgpr13
	s_and_saveexec_b64 s[4:5], vcc
	s_xor_b64 s[8:9], exec, s[4:5]
	s_cbranch_execz .LBB8_9
; %bb.8:
	v_cvt_f32_u32_e32 v12, v14
	v_cvt_f32_u32_e32 v13, v11
	v_sub_co_u32_e32 v15, vcc, 0, v14
	v_subb_co_u32_e32 v16, vcc, 0, v11, vcc
	v_madmk_f32 v12, v13, 0x4f800000, v12
	v_rcp_f32_e32 v12, v12
	v_mul_f32_e32 v12, 0x5f7ffffc, v12
	v_mul_f32_e32 v13, 0x2f800000, v12
	v_trunc_f32_e32 v13, v13
	v_madmk_f32 v12, v13, 0xcf800000, v12
	v_cvt_u32_f32_e32 v13, v13
	v_cvt_u32_f32_e32 v12, v12
	v_mul_lo_u32 v17, v15, v13
	v_mul_hi_u32 v19, v15, v12
	v_mul_lo_u32 v18, v16, v12
	v_add_u32_e32 v17, v19, v17
	v_add_u32_e32 v17, v17, v18
	v_mul_lo_u32 v20, v15, v12
	v_mul_lo_u32 v19, v12, v17
	v_mul_hi_u32 v21, v12, v20
	v_mul_hi_u32 v18, v12, v17
	v_add_co_u32_e32 v19, vcc, v21, v19
	v_addc_co_u32_e32 v18, vcc, 0, v18, vcc
	v_mul_hi_u32 v22, v13, v20
	v_mul_lo_u32 v20, v13, v20
	v_add_co_u32_e32 v19, vcc, v19, v20
	v_mul_hi_u32 v21, v13, v17
	v_addc_co_u32_e32 v18, vcc, v18, v22, vcc
	v_addc_co_u32_e32 v19, vcc, 0, v21, vcc
	v_mul_lo_u32 v17, v13, v17
	v_add_co_u32_e32 v17, vcc, v18, v17
	v_addc_co_u32_e32 v18, vcc, 0, v19, vcc
	v_add_co_u32_e32 v12, vcc, v12, v17
	v_addc_co_u32_e32 v13, vcc, v13, v18, vcc
	v_mul_lo_u32 v17, v15, v13
	v_mul_hi_u32 v18, v15, v12
	v_add_u32_e32 v17, v18, v17
	v_mul_lo_u32 v16, v16, v12
	v_add_u32_e32 v16, v17, v16
	v_mul_lo_u32 v15, v15, v12
	v_mul_hi_u32 v18, v13, v15
	v_mul_lo_u32 v19, v13, v15
	v_mul_lo_u32 v21, v12, v16
	v_mul_hi_u32 v15, v12, v15
	v_mul_hi_u32 v20, v12, v16
	v_add_co_u32_e32 v15, vcc, v15, v21
	v_addc_co_u32_e32 v20, vcc, 0, v20, vcc
	v_add_co_u32_e32 v15, vcc, v15, v19
	v_mul_hi_u32 v17, v13, v16
	v_addc_co_u32_e32 v15, vcc, v20, v18, vcc
	v_addc_co_u32_e32 v17, vcc, 0, v17, vcc
	v_mul_lo_u32 v16, v13, v16
	v_add_co_u32_e32 v15, vcc, v15, v16
	v_addc_co_u32_e32 v16, vcc, 0, v17, vcc
	v_add_co_u32_e32 v15, vcc, v12, v15
	v_addc_co_u32_e32 v16, vcc, v13, v16, vcc
	v_mad_u64_u32 v[12:13], s[4:5], v10, v16, 0
	v_mul_hi_u32 v17, v10, v15
	v_add_co_u32_e32 v18, vcc, v17, v12
	v_addc_co_u32_e32 v19, vcc, 0, v13, vcc
	v_mad_u64_u32 v[12:13], s[4:5], v9, v16, 0
	v_mad_u64_u32 v[16:17], s[4:5], v9, v15, 0
	v_add_co_u32_e32 v15, vcc, v18, v16
	v_addc_co_u32_e32 v15, vcc, v19, v17, vcc
	v_addc_co_u32_e32 v13, vcc, 0, v13, vcc
	v_add_co_u32_e32 v12, vcc, v15, v12
	v_addc_co_u32_e32 v13, vcc, 0, v13, vcc
	v_mul_lo_u32 v15, v11, v12
	v_mul_lo_u32 v16, v14, v13
	v_mad_u64_u32 v[12:13], s[4:5], v14, v12, 0
	v_add3_u32 v13, v13, v16, v15
	v_sub_u32_e32 v15, v9, v13
	v_sub_co_u32_e32 v10, vcc, v10, v12
	v_subb_co_u32_e64 v12, s[4:5], v15, v11, vcc
	v_sub_co_u32_e64 v15, s[4:5], v10, v14
	v_subbrev_co_u32_e64 v16, s[6:7], 0, v12, s[4:5]
	v_cmp_ge_u32_e64 s[6:7], v16, v11
	v_cndmask_b32_e64 v17, 0, -1, s[6:7]
	v_cmp_ge_u32_e64 s[6:7], v15, v14
	v_cndmask_b32_e64 v18, 0, -1, s[6:7]
	v_cmp_eq_u32_e64 s[6:7], v16, v11
	v_subb_co_u32_e64 v12, s[4:5], v12, v11, s[4:5]
	v_cndmask_b32_e64 v17, v17, v18, s[6:7]
	v_sub_co_u32_e64 v18, s[4:5], v15, v14
	v_subb_co_u32_e32 v9, vcc, v9, v13, vcc
	v_subbrev_co_u32_e64 v12, s[4:5], 0, v12, s[4:5]
	v_cmp_ge_u32_e32 vcc, v9, v11
	v_cmp_ne_u32_e64 s[4:5], 0, v17
	v_cndmask_b32_e64 v13, 0, -1, vcc
	v_cmp_ge_u32_e32 vcc, v10, v14
	v_cndmask_b32_e64 v12, v16, v12, s[4:5]
	v_cndmask_b32_e64 v16, 0, -1, vcc
	v_cmp_eq_u32_e32 vcc, v9, v11
	v_cndmask_b32_e32 v11, v13, v16, vcc
	v_cmp_ne_u32_e32 vcc, 0, v11
	v_cndmask_b32_e32 v13, v9, v12, vcc
	v_cndmask_b32_e64 v9, v15, v18, s[4:5]
	v_cndmask_b32_e32 v12, v10, v9, vcc
                                        ; implicit-def: $vgpr10_vgpr11
.LBB8_9:
	s_andn2_saveexec_b64 s[4:5], s[8:9]
	s_cbranch_execz .LBB8_11
; %bb.10:
	v_cvt_f32_u32_e32 v9, v14
	v_sub_u32_e32 v11, 0, v14
	v_mov_b32_e32 v13, 0
	v_rcp_iflag_f32_e32 v9, v9
	v_mul_f32_e32 v9, 0x4f7ffffe, v9
	v_cvt_u32_f32_e32 v9, v9
	v_mul_lo_u32 v11, v11, v9
	v_mul_hi_u32 v11, v9, v11
	v_add_u32_e32 v9, v9, v11
	v_mul_hi_u32 v9, v10, v9
	v_mul_lo_u32 v9, v9, v14
	v_sub_u32_e32 v9, v10, v9
	v_sub_u32_e32 v10, v9, v14
	v_cmp_ge_u32_e32 vcc, v9, v14
	v_cndmask_b32_e32 v9, v9, v10, vcc
	v_sub_u32_e32 v10, v9, v14
	v_cmp_ge_u32_e32 vcc, v9, v14
	v_cndmask_b32_e32 v12, v9, v10, vcc
.LBB8_11:
	s_or_b64 exec, exec, s[4:5]
	v_accvgpr_read_b32 v9, a34
	v_sub_u32_e32 v11, v8, v9
	v_add_u32_e32 v10, 1, v8
	v_add_u32_e32 v8, v14, v11
	v_ashrrev_i32_e32 v9, 31, v8
	v_lshlrev_b64 v[8:9], 3, v[8:9]
	v_add_co_u32_e32 v8, vcc, v59, v8
	v_addc_co_u32_e32 v9, vcc, v58, v9, vcc
	flat_store_dword v[8:9], v10
	s_mov_b64 s[4:5], 0
	v_mov_b32_e32 v14, 0
	v_mov_b32_e32 v9, -1
	s_getpc_b64 s[6:7]
	s_add_u32 s6, s6, P@rel32@lo+4
	s_addc_u32 s7, s7, P@rel32@hi+12
.LBB8_12:                               ; =>This Inner Loop Header: Depth=1
	global_load_dwordx2 v[16:17], v14, s[6:7]
	v_lshlrev_b64 v[12:13], 3, v[12:13]
	v_add_co_u32_e32 v12, vcc, v59, v12
	v_addc_co_u32_e32 v13, vcc, v58, v13, vcc
	s_waitcnt vmcnt(0)
	global_load_dword v8, v[16:17], off
	s_waitcnt vmcnt(0)
	v_add_u32_e32 v8, v8, v11
	flat_atomic_cmpswap v12, v[12:13], v[8:9] offset:4 glc
	s_waitcnt vmcnt(0) lgkmcnt(0)
	v_cmp_eq_u32_e32 vcc, -1, v12
	s_or_b64 s[4:5], vcc, s[4:5]
	v_ashrrev_i32_e32 v13, 31, v12
	s_andn2_b64 exec, exec, s[4:5]
	s_cbranch_execnz .LBB8_12
; %bb.13:
	s_or_b64 exec, exec, s[4:5]
	flat_load_dword v11, v[0:1] offset:4
	flat_load_dword v8, v[2:3] offset:4
	;; [unrolled: 1-line block ×4, first 2 shown]
	s_waitcnt vmcnt(0) lgkmcnt(0)
	v_cmp_gt_i32_e32 vcc, v11, v8
	v_mov_b32_e32 v13, v9
	v_mov_b32_e32 v14, v8
	s_and_saveexec_b64 s[4:5], vcc
; %bb.14:
	v_mov_b32_e32 v13, v12
	v_mov_b32_e32 v12, v9
	;; [unrolled: 1-line block ×4, first 2 shown]
; %bb.15:
	s_or_b64 exec, exec, s[4:5]
	v_mov_b32_e32 v6, 0
	s_getpc_b64 s[4:5]
	s_add_u32 s4, s4, P@rel32@lo+4
	s_addc_u32 s5, s5, P@rel32@hi+12
	global_load_dwordx2 v[4:5], v6, s[4:5]
	s_movk_i32 s4, 0x1f01
	s_waitcnt vmcnt(0)
	global_load_dword v8, v[4:5], off
	v_mul_lo_u32 v4, v11, s4
	s_movk_i32 s4, 0xb9b
	v_mul_lo_u32 v5, v14, s4
	s_movk_i32 s4, 0x38f
	;; [unrolled: 2-line block ×3, first 2 shown]
	v_mul_lo_u32 v9, v13, s4
	v_xor_b32_e32 v7, v7, v9
	v_xor_b32_e32 v5, v7, v5
	;; [unrolled: 1-line block ×3, first 2 shown]
	v_ashrrev_i32_e32 v5, 31, v4
	s_waitcnt vmcnt(0)
	v_ashrrev_i32_e32 v9, 31, v8
	v_or_b32_e32 v7, v5, v9
	v_cmp_ne_u64_e32 vcc, 0, v[6:7]
                                        ; implicit-def: $vgpr6_vgpr7
	s_and_saveexec_b64 s[4:5], vcc
	s_xor_b64 s[8:9], exec, s[4:5]
	s_cbranch_execz .LBB8_17
; %bb.16:
	v_cvt_f32_u32_e32 v6, v8
	v_cvt_f32_u32_e32 v7, v9
	v_sub_co_u32_e32 v15, vcc, 0, v8
	v_subb_co_u32_e32 v16, vcc, 0, v9, vcc
	v_madmk_f32 v6, v7, 0x4f800000, v6
	v_rcp_f32_e32 v6, v6
	v_mul_f32_e32 v6, 0x5f7ffffc, v6
	v_mul_f32_e32 v7, 0x2f800000, v6
	v_trunc_f32_e32 v7, v7
	v_madmk_f32 v6, v7, 0xcf800000, v6
	v_cvt_u32_f32_e32 v7, v7
	v_cvt_u32_f32_e32 v6, v6
	v_mul_lo_u32 v17, v15, v7
	v_mul_hi_u32 v19, v15, v6
	v_mul_lo_u32 v18, v16, v6
	v_add_u32_e32 v17, v19, v17
	v_add_u32_e32 v17, v17, v18
	v_mul_lo_u32 v20, v15, v6
	v_mul_lo_u32 v19, v6, v17
	v_mul_hi_u32 v21, v6, v20
	v_mul_hi_u32 v18, v6, v17
	v_add_co_u32_e32 v19, vcc, v21, v19
	v_addc_co_u32_e32 v18, vcc, 0, v18, vcc
	v_mul_hi_u32 v22, v7, v20
	v_mul_lo_u32 v20, v7, v20
	v_add_co_u32_e32 v19, vcc, v19, v20
	v_mul_hi_u32 v21, v7, v17
	v_addc_co_u32_e32 v18, vcc, v18, v22, vcc
	v_addc_co_u32_e32 v19, vcc, 0, v21, vcc
	v_mul_lo_u32 v17, v7, v17
	v_add_co_u32_e32 v17, vcc, v18, v17
	v_addc_co_u32_e32 v18, vcc, 0, v19, vcc
	v_add_co_u32_e32 v6, vcc, v6, v17
	v_addc_co_u32_e32 v7, vcc, v7, v18, vcc
	v_mul_lo_u32 v17, v15, v7
	v_mul_hi_u32 v18, v15, v6
	v_add_u32_e32 v17, v18, v17
	v_mul_lo_u32 v16, v16, v6
	v_add_u32_e32 v16, v17, v16
	v_mul_lo_u32 v15, v15, v6
	v_mul_hi_u32 v18, v7, v15
	v_mul_lo_u32 v19, v7, v15
	v_mul_lo_u32 v21, v6, v16
	v_mul_hi_u32 v15, v6, v15
	v_mul_hi_u32 v20, v6, v16
	v_add_co_u32_e32 v15, vcc, v15, v21
	v_addc_co_u32_e32 v20, vcc, 0, v20, vcc
	v_add_co_u32_e32 v15, vcc, v15, v19
	v_mul_hi_u32 v17, v7, v16
	v_addc_co_u32_e32 v15, vcc, v20, v18, vcc
	v_addc_co_u32_e32 v17, vcc, 0, v17, vcc
	v_mul_lo_u32 v16, v7, v16
	v_add_co_u32_e32 v15, vcc, v15, v16
	v_addc_co_u32_e32 v16, vcc, 0, v17, vcc
	v_add_co_u32_e32 v15, vcc, v6, v15
	v_addc_co_u32_e32 v16, vcc, v7, v16, vcc
	v_mad_u64_u32 v[6:7], s[4:5], v4, v16, 0
	v_mul_hi_u32 v17, v4, v15
	v_add_co_u32_e32 v18, vcc, v17, v6
	v_addc_co_u32_e32 v19, vcc, 0, v7, vcc
	v_mad_u64_u32 v[6:7], s[4:5], v5, v16, 0
	v_mad_u64_u32 v[16:17], s[4:5], v5, v15, 0
	v_add_co_u32_e32 v15, vcc, v18, v16
	v_addc_co_u32_e32 v15, vcc, v19, v17, vcc
	v_addc_co_u32_e32 v7, vcc, 0, v7, vcc
	v_add_co_u32_e32 v6, vcc, v15, v6
	v_addc_co_u32_e32 v7, vcc, 0, v7, vcc
	v_mul_lo_u32 v15, v9, v6
	v_mul_lo_u32 v16, v8, v7
	v_mad_u64_u32 v[6:7], s[4:5], v8, v6, 0
	v_add3_u32 v7, v7, v16, v15
	v_sub_u32_e32 v15, v5, v7
	v_sub_co_u32_e32 v4, vcc, v4, v6
	v_subb_co_u32_e64 v6, s[4:5], v15, v9, vcc
	v_sub_co_u32_e64 v15, s[4:5], v4, v8
	v_subbrev_co_u32_e64 v16, s[6:7], 0, v6, s[4:5]
	v_cmp_ge_u32_e64 s[6:7], v16, v9
	v_cndmask_b32_e64 v17, 0, -1, s[6:7]
	v_cmp_ge_u32_e64 s[6:7], v15, v8
	v_subb_co_u32_e32 v5, vcc, v5, v7, vcc
	v_cndmask_b32_e64 v18, 0, -1, s[6:7]
	v_cmp_eq_u32_e64 s[6:7], v16, v9
	v_subb_co_u32_e64 v6, s[4:5], v6, v9, s[4:5]
	v_cmp_ge_u32_e32 vcc, v5, v9
	v_cndmask_b32_e64 v17, v17, v18, s[6:7]
	v_sub_co_u32_e64 v18, s[4:5], v15, v8
	v_cndmask_b32_e64 v7, 0, -1, vcc
	v_cmp_ge_u32_e32 vcc, v4, v8
	v_subbrev_co_u32_e64 v6, s[4:5], 0, v6, s[4:5]
	v_cndmask_b32_e64 v8, 0, -1, vcc
	v_cmp_eq_u32_e32 vcc, v5, v9
	v_cmp_ne_u32_e64 s[4:5], 0, v17
	v_cndmask_b32_e32 v7, v7, v8, vcc
	v_cndmask_b32_e64 v6, v16, v6, s[4:5]
	v_cmp_ne_u32_e32 vcc, 0, v7
	v_cndmask_b32_e32 v7, v5, v6, vcc
	v_cndmask_b32_e64 v5, v15, v18, s[4:5]
	v_cndmask_b32_e32 v6, v4, v5, vcc
                                        ; implicit-def: $vgpr8
                                        ; implicit-def: $vgpr4_vgpr5
.LBB8_17:
	s_andn2_saveexec_b64 s[4:5], s[8:9]
	s_cbranch_execz .LBB8_19
; %bb.18:
	v_cvt_f32_u32_e32 v5, v8
	v_sub_u32_e32 v6, 0, v8
	v_mov_b32_e32 v7, 0
	v_rcp_iflag_f32_e32 v5, v5
	v_mul_f32_e32 v5, 0x4f7ffffe, v5
	v_cvt_u32_f32_e32 v5, v5
	v_mul_lo_u32 v6, v6, v5
	v_mul_hi_u32 v6, v5, v6
	v_add_u32_e32 v5, v5, v6
	v_mul_hi_u32 v5, v4, v5
	v_mul_lo_u32 v5, v5, v8
	v_sub_u32_e32 v4, v4, v5
	v_sub_u32_e32 v5, v4, v8
	v_cmp_ge_u32_e32 vcc, v4, v8
	v_cndmask_b32_e32 v4, v4, v5, vcc
	v_sub_u32_e32 v5, v4, v8
	v_cmp_ge_u32_e32 vcc, v4, v8
	v_cndmask_b32_e32 v6, v4, v5, vcc
.LBB8_19:
	s_or_b64 exec, exec, s[4:5]
	v_lshlrev_b64 v[4:5], 3, v[6:7]
	v_add_co_u32_e32 v4, vcc, v59, v4
	v_addc_co_u32_e32 v5, vcc, v58, v5, vcc
	flat_load_dword v8, v[4:5] offset:4
	v_mov_b32_e32 v5, -1
	s_waitcnt vmcnt(0) lgkmcnt(0)
	v_cmp_ne_u32_e32 vcc, -1, v8
	s_and_saveexec_b64 s[4:5], vcc
	s_cbranch_execz .LBB8_33
; %bb.20:
	s_mov_b64 s[6:7], 0
                                        ; implicit-def: $vgpr15
	s_branch .LBB8_22
.LBB8_21:                               ;   in Loop: Header=BB8_22 Depth=1
	s_or_b64 exec, exec, s[10:11]
	s_and_b64 s[8:9], exec, s[8:9]
	s_or_b64 s[6:7], s[8:9], s[6:7]
	v_mov_b32_e32 v15, v4
	s_andn2_b64 exec, exec, s[6:7]
	s_cbranch_execz .LBB8_32
.LBB8_22:                               ; =>This Inner Loop Header: Depth=1
	v_ashrrev_i32_e32 v9, 31, v8
	v_lshlrev_b64 v[4:5], 3, v[8:9]
	v_add_co_u32_e32 v6, vcc, v59, v4
	v_addc_co_u32_e32 v7, vcc, v58, v5, vcc
	flat_load_dword v4, v[6:7]
                                        ; implicit-def: $sgpr12_sgpr13
	s_waitcnt vmcnt(0) lgkmcnt(0)
	v_ashrrev_i32_e32 v5, 31, v4
	v_lshlrev_b64 v[8:9], 2, v[4:5]
	v_add_co_u32_e32 v16, vcc, v30, v8
	v_addc_co_u32_e32 v17, vcc, v29, v9, vcc
	flat_load_dword v5, v[16:17]
	s_waitcnt vmcnt(0) lgkmcnt(0)
	v_cmp_ne_u32_e64 s[8:9], v5, v11
	v_cmp_eq_u32_e32 vcc, v5, v11
	s_and_saveexec_b64 s[10:11], vcc
	s_cbranch_execz .LBB8_28
; %bb.23:                               ;   in Loop: Header=BB8_22 Depth=1
	v_add_co_u32_e32 v16, vcc, v28, v8
	v_addc_co_u32_e32 v17, vcc, v27, v9, vcc
	flat_load_dword v5, v[16:17]
                                        ; implicit-def: $sgpr12_sgpr13
	s_waitcnt vmcnt(0) lgkmcnt(0)
	v_cmp_ne_u32_e64 s[14:15], v5, v14
	v_cmp_eq_u32_e32 vcc, v5, v14
	s_and_saveexec_b64 s[16:17], vcc
	s_cbranch_execz .LBB8_27
; %bb.24:                               ;   in Loop: Header=BB8_22 Depth=1
	v_add_co_u32_e32 v16, vcc, v26, v8
	v_addc_co_u32_e32 v17, vcc, v25, v9, vcc
	flat_load_dword v5, v[16:17]
                                        ; implicit-def: $sgpr12_sgpr13
	s_waitcnt vmcnt(0) lgkmcnt(0)
	v_cmp_ne_u32_e64 s[18:19], v5, v12
	v_cmp_eq_u32_e32 vcc, v5, v12
	s_and_saveexec_b64 s[20:21], vcc
	s_cbranch_execz .LBB8_26
; %bb.25:                               ;   in Loop: Header=BB8_22 Depth=1
	v_add_co_u32_e32 v8, vcc, v24, v8
	v_addc_co_u32_e32 v9, vcc, v23, v9, vcc
	flat_load_dword v5, v[8:9]
	s_andn2_b64 s[18:19], s[18:19], exec
	s_mov_b64 s[12:13], 0
	s_waitcnt vmcnt(0) lgkmcnt(0)
	v_cmp_ne_u32_e32 vcc, v5, v13
	s_and_b64 s[22:23], vcc, exec
	s_or_b64 s[18:19], s[18:19], s[22:23]
.LBB8_26:                               ;   in Loop: Header=BB8_22 Depth=1
	s_or_b64 exec, exec, s[20:21]
	s_andn2_b64 s[14:15], s[14:15], exec
	s_and_b64 s[18:19], s[18:19], exec
	s_or_b64 s[14:15], s[14:15], s[18:19]
.LBB8_27:                               ;   in Loop: Header=BB8_22 Depth=1
	s_or_b64 exec, exec, s[16:17]
	s_andn2_b64 s[8:9], s[8:9], exec
	s_and_b64 s[14:15], s[14:15], exec
	s_or_b64 s[8:9], s[8:9], s[14:15]
.LBB8_28:                               ;   in Loop: Header=BB8_22 Depth=1
	s_or_b64 exec, exec, s[10:11]
	s_and_saveexec_b64 s[10:11], s[8:9]
; %bb.29:                               ;   in Loop: Header=BB8_22 Depth=1
	s_or_b64 s[12:13], s[12:13], exec
	v_mov_b32_e32 v4, v15
; %bb.30:                               ;   in Loop: Header=BB8_22 Depth=1
	s_or_b64 exec, exec, s[10:11]
	s_mov_b64 s[8:9], -1
	v_mov_b32_e32 v5, v4
                                        ; implicit-def: $vgpr8
	s_and_saveexec_b64 s[10:11], s[12:13]
	s_cbranch_execz .LBB8_21
; %bb.31:                               ;   in Loop: Header=BB8_22 Depth=1
	flat_load_dword v8, v[6:7] offset:4
	v_mov_b32_e32 v5, -1
	s_waitcnt vmcnt(0) lgkmcnt(0)
	v_cmp_eq_u32_e32 vcc, -1, v8
	s_orn2_b64 s[8:9], vcc, exec
	s_branch .LBB8_21
.LBB8_32:
	s_or_b64 exec, exec, s[6:7]
.LBB8_33:
	s_or_b64 exec, exec, s[4:5]
	v_cmp_ne_u32_e32 vcc, v5, v10
	s_and_saveexec_b64 s[4:5], vcc
	s_cbranch_execz .LBB8_35
; %bb.34:
	v_mov_b32_e32 v4, -1
	v_mov_b32_e32 v10, v5
	flat_store_dword v[2:3], v4 offset:4
	flat_store_dword v[0:1], v4 offset:4
.LBB8_35:
	s_or_b64 exec, exec, s[4:5]
	v_accvgpr_read_b32 v0, a32
	v_accvgpr_read_b32 v1, a33
	flat_store_dword v[0:1], v10
.LBB8_36:
	s_or_b64 exec, exec, s[34:35]
	buffer_load_dword a43, off, s[0:3], s33 ; 4-byte Folded Reload
	buffer_load_dword a42, off, s[0:3], s33 offset:4 ; 4-byte Folded Reload
	buffer_load_dword a41, off, s[0:3], s33 offset:8 ; 4-byte Folded Reload
	buffer_load_dword a40, off, s[0:3], s33 offset:12 ; 4-byte Folded Reload
	buffer_load_dword a39, off, s[0:3], s33 offset:16 ; 4-byte Folded Reload
	buffer_load_dword a38, off, s[0:3], s33 offset:20 ; 4-byte Folded Reload
	buffer_load_dword a37, off, s[0:3], s33 offset:24 ; 4-byte Folded Reload
	buffer_load_dword a36, off, s[0:3], s33 offset:28 ; 4-byte Folded Reload
	buffer_load_dword a35, off, s[0:3], s33 offset:32 ; 4-byte Folded Reload
	buffer_load_dword a34, off, s[0:3], s33 offset:36 ; 4-byte Folded Reload
	buffer_load_dword a33, off, s[0:3], s33 offset:40 ; 4-byte Folded Reload
	buffer_load_dword a32, off, s[0:3], s33 offset:44 ; 4-byte Folded Reload
	buffer_load_dword v62, off, s[0:3], s33 offset:48 ; 4-byte Folded Reload
	buffer_load_dword v61, off, s[0:3], s33 offset:52 ; 4-byte Folded Reload
	buffer_load_dword v60, off, s[0:3], s33 offset:56 ; 4-byte Folded Reload
	buffer_load_dword v59, off, s[0:3], s33 offset:60 ; 4-byte Folded Reload
	buffer_load_dword v58, off, s[0:3], s33 offset:64 ; 4-byte Folded Reload
	buffer_load_dword v57, off, s[0:3], s33 offset:68 ; 4-byte Folded Reload
	buffer_load_dword v56, off, s[0:3], s33 offset:72 ; 4-byte Folded Reload
	buffer_load_dword v47, off, s[0:3], s33 offset:76 ; 4-byte Folded Reload
	buffer_load_dword v46, off, s[0:3], s33 offset:80 ; 4-byte Folded Reload
	buffer_load_dword v45, off, s[0:3], s33 offset:84 ; 4-byte Folded Reload
	buffer_load_dword v44, off, s[0:3], s33 offset:88 ; 4-byte Folded Reload
	buffer_load_dword v43, off, s[0:3], s33 offset:92 ; 4-byte Folded Reload
	buffer_load_dword v42, off, s[0:3], s33 offset:96 ; 4-byte Folded Reload
	buffer_load_dword v41, off, s[0:3], s33 offset:100 ; 4-byte Folded Reload
	buffer_load_dword v40, off, s[0:3], s33 offset:104 ; 4-byte Folded Reload
	v_readlane_b32 s30, v63, 4
	v_readlane_b32 s31, v63, 5
	;; [unrolled: 1-line block ×7, first 2 shown]
	s_or_saveexec_b64 s[6:7], -1
	buffer_load_dword v63, off, s[0:3], s33 offset:108 ; 4-byte Folded Reload
	s_mov_b64 exec, s[6:7]
	s_addk_i32 s32, 0xe000
	s_mov_b32 s33, s4
	s_waitcnt vmcnt(0) lgkmcnt(0)
	s_setpc_b64 s[30:31]
.Lfunc_end8:
	.size	_Z10BuildSubgriiPN2rw7LibraryEPimS2_S2_S2_S2_S2_PNS_9TableNodeEi, .Lfunc_end8-_Z10BuildSubgriiPN2rw7LibraryEPimS2_S2_S2_S2_S2_PNS_9TableNodeEi
                                        ; -- End function
	.section	.AMDGPU.csdata,"",@progbits
; Function info:
; codeLenInByte = 4128
; NumSgprs: 42
; NumVgprs: 64
; NumAgprs: 44
; TotalNumVgprs: 108
; ScratchSize: 128
; MemoryBound: 0
	.text
	.protected	_Z12ReplaceSubgriPiS_S_S_S_PN2rw3CutEPNS0_7LibraryEPNS0_9TableNodeES6_S_S_ ; -- Begin function _Z12ReplaceSubgriPiS_S_S_S_PN2rw3CutEPNS0_7LibraryEPNS0_9TableNodeES6_S_S_
	.globl	_Z12ReplaceSubgriPiS_S_S_S_PN2rw3CutEPNS0_7LibraryEPNS0_9TableNodeES6_S_S_
	.p2align	8
	.type	_Z12ReplaceSubgriPiS_S_S_S_PN2rw3CutEPNS0_7LibraryEPNS0_9TableNodeES6_S_S_,@function
_Z12ReplaceSubgriPiS_S_S_S_PN2rw3CutEPNS0_7LibraryEPNS0_9TableNodeES6_S_S_: ; @_Z12ReplaceSubgriPiS_S_S_S_PN2rw3CutEPNS0_7LibraryEPNS0_9TableNodeES6_S_S_
; %bb.0:
	s_add_u32 flat_scratch_lo, s8, s11
	s_load_dword s8, s[6:7], 0x6c
	s_load_dword s33, s[6:7], 0x0
	s_addc_u32 flat_scratch_hi, s9, 0
	s_add_u32 s0, s0, s11
	s_addc_u32 s1, s1, 0
	s_waitcnt lgkmcnt(0)
	s_and_b32 s8, s8, 0xffff
	v_and_b32_e32 v1, 0x3ff, v0
	s_mul_i32 s10, s10, s8
	v_add_u32_e32 v2, s10, v1
	v_cmp_gt_u32_e32 vcc, s33, v2
	s_movk_i32 s32, 0x3800
	s_and_saveexec_b64 s[8:9], vcc
	s_cbranch_execz .LBB9_41
; %bb.1:
	s_load_dwordx16 s[8:23], s[6:7], 0x8
	v_bfe_u32 v3, v0, 10, 10
	s_load_dwordx2 s[4:5], s[4:5], 0x4
	v_bfe_u32 v0, v0, 20, 10
	s_waitcnt lgkmcnt(0)
	v_mov_b32_e32 v4, s18
	v_mov_b32_e32 v5, s19
	v_mad_i64_i32 v[12:13], s[18:19], v2, 28, v[4:5]
	global_load_dwordx4 v[4:7], v[12:13], off offset:40
	global_load_dwordx4 v[8:11], v[12:13], off offset:28
	s_lshr_b32 s4, s4, 16
	s_mul_i32 s4, s4, s5
	v_mul_lo_u32 v1, s4, v1
	v_mul_u32_u24_e32 v3, s5, v3
	v_add3_u32 v0, v1, v3, v0
	v_mul_lo_u32 v1, v0, 28
	s_waitcnt vmcnt(1)
	ds_write2_b32 v1, v6, v7 offset0:5 offset1:6
	ds_read_u8 v0, v1 offset:24
	ds_write2_b32 v1, v4, v5 offset0:3 offset1:4
	s_waitcnt vmcnt(0)
	ds_write2_b32 v1, v10, v11 offset0:2 offset1:3
	ds_write2_b32 v1, v8, v9 offset1:1
	s_waitcnt lgkmcnt(3)
	v_cmp_ne_u16_e32 vcc, 0, v0
	s_and_b64 exec, exec, vcc
	s_cbranch_execz .LBB9_41
; %bb.2:
	ds_read_b32 v0, v1 offset:20
	s_waitcnt lgkmcnt(0)
	v_bfe_u32 v4, v0, 27, 4
	v_cmp_lt_u32_e32 vcc, 2, v4
	s_and_b64 exec, exec, vcc
	s_cbranch_execz .LBB9_41
; %bb.3:
	v_ashrrev_i32_e32 v3, 31, v2
	v_cmp_eq_u32_e32 vcc, 3, v4
	s_and_saveexec_b64 s[4:5], vcc
	s_cbranch_execz .LBB9_5
; %bb.4:
	v_and_b32_e32 v0, 0x87ffffff, v0
	v_or_b32_e32 v0, 0x20000000, v0
	v_mov_b32_e32 v4, 0
	ds_write2_b32 v1, v4, v0 offset0:4 offset1:5
.LBB9_5:
	s_or_b64 exec, exec, s[4:5]
	v_mov_b32_e32 v4, 2
	v_lshlrev_b32_sdwa v14, v4, v0 dst_sel:DWORD dst_unused:UNUSED_PAD src0_sel:DWORD src1_sel:WORD_0
	v_mov_b32_e32 v0, s21
	v_add_co_u32_e32 v5, vcc, s20, v14
	v_addc_co_u32_e32 v0, vcc, 0, v0, vcc
	v_add_co_u32_e32 v4, vcc, 0x80000, v5
	s_mov_b64 s[4:5], vcc
	v_add_co_u32_e32 v6, vcc, 0x40000, v5
	v_addc_co_u32_e32 v7, vcc, 0, v0, vcc
	global_load_dword v6, v[6:7], off
	v_lshlrev_b64 v[40:41], 2, v[2:3]
	v_mov_b32_e32 v3, s9
	v_add_co_u32_e32 v8, vcc, s8, v40
	v_addc_co_u32_e32 v9, vcc, v3, v41, vcc
	global_load_dword v10, v[8:9], off offset:4
	v_addc_co_u32_e64 v5, vcc, 0, v0, s[4:5]
	global_load_dword v4, v[4:5], off offset:384
	v_mov_b32_e32 v0, s21
	s_mov_b32 s8, 0x80000
	s_add_u32 s4, s20, 0xc0870
	s_addc_u32 s5, s21, 0
	s_movk_i32 s9, 0x50
	v_pk_mov_b32 v[12:13], s[4:5], s[4:5] op_sel:[0,1]
	v_mov_b32_e32 v5, -1
	s_waitcnt vmcnt(2)
	v_ashrrev_i32_e32 v7, 31, v6
	v_lshlrev_b64 v[6:7], 4, v[6:7]
	v_add_co_u32_e32 v3, vcc, s20, v6
	v_addc_co_u32_e32 v0, vcc, v0, v7, vcc
	v_add_co_u32_e32 v6, vcc, s8, v3
	v_addc_co_u32_e32 v7, vcc, 0, v0, vcc
	global_load_dwordx4 v[6:9], v[6:7], off
	s_waitcnt vmcnt(2)
	v_ashrrev_i32_e32 v11, 31, v10
	v_lshlrev_b64 v[10:11], 2, v[10:11]
	s_waitcnt vmcnt(1)
	v_mad_i64_i32 v[12:13], s[4:5], v4, s9, v[12:13]
	v_add_co_u32_e32 v12, vcc, v12, v10
	v_addc_co_u32_e32 v13, vcc, v13, v11, vcc
	global_load_dword v0, v[12:13], off
	global_load_dword v10, v14, s[20:21]
	s_nop 0
	buffer_store_dword v5, off, s[0:3], 0 offset:20
	buffer_store_dword v5, off, s[0:3], 0 offset:16
	buffer_store_dword v5, off, s[0:3], 0 offset:28
	buffer_store_dword v5, off, s[0:3], 0 offset:24
	buffer_store_dword v5, off, s[0:3], 0 offset:36
	buffer_store_dword v5, off, s[0:3], 0 offset:32
	buffer_store_dword v5, off, s[0:3], 0 offset:44
	buffer_store_dword v5, off, s[0:3], 0 offset:40
	buffer_store_dword v5, off, s[0:3], 0 offset:52
	buffer_store_dword v5, off, s[0:3], 0 offset:48
	buffer_store_dword v5, off, s[0:3], 0 offset:60
	buffer_store_dword v5, off, s[0:3], 0 offset:56
	buffer_store_dword v5, off, s[0:3], 0 offset:68
	buffer_store_dword v5, off, s[0:3], 0 offset:64
	buffer_store_dword v5, off, s[0:3], 0 offset:76
	buffer_store_dword v5, off, s[0:3], 0 offset:72
	buffer_store_dword v5, off, s[0:3], 0 offset:84
	buffer_store_dword v5, off, s[0:3], 0 offset:80
	buffer_store_dword v5, off, s[0:3], 0 offset:92
	buffer_store_dword v5, off, s[0:3], 0 offset:88
	buffer_store_dword v5, off, s[0:3], 0 offset:100
	buffer_store_dword v5, off, s[0:3], 0 offset:96
	buffer_store_dword v5, off, s[0:3], 0 offset:108
	buffer_store_dword v5, off, s[0:3], 0 offset:104
	buffer_store_dword v5, off, s[0:3], 0 offset:116
	buffer_store_dword v5, off, s[0:3], 0 offset:112
	buffer_store_dword v5, off, s[0:3], 0 offset:124
	buffer_store_dword v5, off, s[0:3], 0 offset:120
	buffer_store_dword v5, off, s[0:3], 0 offset:132
	buffer_store_dword v5, off, s[0:3], 0 offset:128
	buffer_store_dword v5, off, s[0:3], 0 offset:140
	buffer_store_dword v5, off, s[0:3], 0 offset:136
	buffer_store_dword v5, off, s[0:3], 0 offset:148
	buffer_store_dword v5, off, s[0:3], 0 offset:144
	buffer_store_dword v5, off, s[0:3], 0 offset:156
	buffer_store_dword v5, off, s[0:3], 0 offset:152
	buffer_store_dword v5, off, s[0:3], 0 offset:164
	buffer_store_dword v5, off, s[0:3], 0 offset:160
	buffer_store_dword v5, off, s[0:3], 0 offset:172
	buffer_store_dword v5, off, s[0:3], 0 offset:168
	buffer_store_dword v5, off, s[0:3], 0 offset:180
	buffer_store_dword v5, off, s[0:3], 0 offset:176
	buffer_store_dword v5, off, s[0:3], 0 offset:188
	buffer_store_dword v5, off, s[0:3], 0 offset:184
	buffer_store_dword v5, off, s[0:3], 0 offset:196
	buffer_store_dword v5, off, s[0:3], 0 offset:192
	buffer_store_dword v5, off, s[0:3], 0 offset:204
	buffer_store_dword v5, off, s[0:3], 0 offset:200
	buffer_store_dword v5, off, s[0:3], 0 offset:212
	buffer_store_dword v5, off, s[0:3], 0 offset:208
	v_mov_b32_e32 v3, 0
	s_waitcnt vmcnt(52)
	v_lshl_add_u32 v5, v6, 2, v1
	v_lshl_add_u32 v6, v7, 2, v1
	v_lshl_add_u32 v7, v8, 2, v1
	v_lshl_add_u32 v1, v9, 2, v1
	ds_read_b32 v11, v5 offset:4
	ds_read_b32 v6, v6 offset:4
	;; [unrolled: 1-line block ×4, first 2 shown]
	v_ashrrev_i32_e32 v5, 31, v4
	s_waitcnt lgkmcnt(2)
	buffer_store_dword v6, off, s[0:3], 0 offset:4
	buffer_store_dword v11, off, s[0:3], 0
	s_waitcnt lgkmcnt(0)
	buffer_store_dword v1, off, s[0:3], 0 offset:12
	buffer_store_dword v7, off, s[0:3], 0 offset:8
	s_waitcnt vmcnt(55)
	v_lshlrev_b64 v[8:9], v0, 1
	v_cmp_lt_i32_e32 vcc, 3, v0
	s_and_saveexec_b64 s[4:5], vcc
	s_cbranch_execz .LBB9_11
; %bb.6:
	v_add_u32_e32 v6, -4, v0
	v_mov_b32_e32 v7, 0
	v_lshlrev_b64 v[6:7], 2, v[6:7]
	s_movk_i32 s8, 0xf0
	v_mad_i64_i32 v[6:7], s[8:9], v4, s8, v[6:7]
	v_mov_b32_e32 v1, s21
	v_add_co_u32_e32 v6, vcc, s20, v6
	v_addc_co_u32_e32 v1, vcc, v7, v1, vcc
	v_add_co_u32_e32 v6, vcc, 0xc4dd0, v6
	v_addc_co_u32_e32 v7, vcc, 0, v1, vcc
	s_mov_b64 s[8:9], 0
	s_mov_b64 s[18:19], 0
	s_branch .LBB9_8
.LBB9_7:                                ;   in Loop: Header=BB9_8 Depth=1
	s_or_b64 exec, exec, s[24:25]
	s_add_u32 s18, s18, -1
	v_add3_u32 v1, v0, s18, 1
	s_addc_u32 s19, s19, -1
	v_cmp_gt_u32_e32 vcc, 5, v1
	s_or_b64 s[8:9], vcc, s[8:9]
	v_add_co_u32_e32 v6, vcc, -4, v6
	v_addc_co_u32_e32 v7, vcc, -1, v7, vcc
	s_andn2_b64 exec, exec, s[8:9]
	s_cbranch_execz .LBB9_10
.LBB9_8:                                ; =>This Inner Loop Header: Depth=1
	v_add_u32_e32 v1, s18, v0
	v_lshrrev_b64 v[12:13], v1, v[8:9]
	v_and_b32_e32 v1, 1, v12
	v_cmp_eq_u32_e32 vcc, 1, v1
	s_and_saveexec_b64 s[24:25], vcc
	s_cbranch_execz .LBB9_7
; %bb.9:                                ;   in Loop: Header=BB9_8 Depth=1
	v_add_co_u32_e32 v12, vcc, 0xd000, v6
	v_addc_co_u32_e32 v13, vcc, 0, v7, vcc
	global_load_dword v1, v[6:7], off
	global_load_dword v11, v[12:13], off offset:32
	s_waitcnt vmcnt(1)
	v_lshlrev_b64 v[12:13], v1, 1
	s_waitcnt vmcnt(0)
	v_lshlrev_b64 v[14:15], v11, 1
	v_or3_b32 v9, v13, v15, v9
	v_or3_b32 v8, v12, v14, v8
	s_branch .LBB9_7
.LBB9_10:
	s_or_b64 exec, exec, s[8:9]
.LBB9_11:
	s_or_b64 exec, exec, s[4:5]
	v_lshlrev_b64 v[6:7], 2, v[4:5]
	v_mov_b32_e32 v1, s21
	v_add_co_u32_e32 v5, vcc, s20, v6
	v_addc_co_u32_e32 v1, vcc, v1, v7, vcc
	v_add_co_u32_e32 v6, vcc, 0xc0000, v5
	v_addc_co_u32_e32 v7, vcc, 0, v1, vcc
	global_load_dword v5, v[6:7], off offset:384
	s_waitcnt vmcnt(55)
	v_and_b32_e32 v6, 15, v10
	v_mov_b32_e32 v10, 0
	v_add_u32_e32 v3, 16, v3
	v_mov_b32_e32 v7, v10
	s_mov_b32 s19, 0
	s_waitcnt vmcnt(0)
	v_cmp_lt_i32_e32 vcc, 0, v5
	s_and_saveexec_b64 s[24:25], vcc
	s_cbranch_execz .LBB9_39
; %bb.12:
	s_add_u32 s48, s20, 0xc4dd0
	s_addc_u32 s49, s21, 0
	s_add_u32 s50, s20, 0xd1df0
	s_addc_u32 s51, s21, 0
	;; [unrolled: 2-line block ×4, first 2 shown]
	s_getpc_b64 s[4:5]
	s_add_u32 s4, s4, P@rel32@lo+4
	s_addc_u32 s5, s5, P@rel32@hi+12
	s_load_dwordx2 s[26:27], s[4:5], 0x0
	s_mov_b64 s[28:29], 0
	s_movk_i32 s56, 0xf0
	v_mov_b32_e32 v18, 0
	s_movk_i32 s57, 0x1f01
	s_movk_i32 s58, 0xb9b
	;; [unrolled: 1-line block ×4, first 2 shown]
	s_mov_b32 s18, s19
	s_branch .LBB9_14
.LBB9_13:                               ;   in Loop: Header=BB9_14 Depth=1
	s_or_b64 exec, exec, s[30:31]
	s_add_i32 s18, s18, 1
	v_cmp_eq_u32_e32 vcc, s18, v5
	s_or_b64 s[28:29], vcc, s[28:29]
	s_andn2_b64 exec, exec, s[28:29]
	s_cbranch_execz .LBB9_39
.LBB9_14:                               ; =>This Loop Header: Depth=1
                                        ;     Child Loop BB9_26 Depth 2
	s_add_i32 s4, s18, 4
	v_lshrrev_b64 v[12:13], s4, v[8:9]
	v_and_b32_e32 v1, 1, v12
	v_cmp_eq_u32_e32 vcc, 1, v1
	s_and_saveexec_b64 s[30:31], vcc
	s_cbranch_execz .LBB9_13
; %bb.15:                               ;   in Loop: Header=BB9_14 Depth=1
	s_lshl_b64 s[4:5], s[18:19], 2
	s_add_u32 s8, s4, s48
	s_addc_u32 s9, s5, s49
	v_pk_mov_b32 v[12:13], s[8:9], s[8:9] op_sel:[0,1]
	v_mad_i64_i32 v[12:13], s[8:9], v4, s56, v[12:13]
	global_load_dword v11, v[12:13], off
	s_waitcnt vmcnt(0)
	v_lshl_add_u32 v1, v11, 2, v18
	buffer_load_dword v19, v1, s[0:3], 0 offen
	s_waitcnt vmcnt(0)
	v_cmp_ne_u32_e32 vcc, -1, v19
	s_and_b64 exec, exec, vcc
	s_cbranch_execz .LBB9_13
; %bb.16:                               ;   in Loop: Header=BB9_14 Depth=1
	s_add_u32 s8, s4, s50
	s_addc_u32 s9, s5, s51
	v_pk_mov_b32 v[12:13], s[8:9], s[8:9] op_sel:[0,1]
	v_mad_i64_i32 v[12:13], s[8:9], v4, s56, v[12:13]
	global_load_dword v12, v[12:13], off
	s_waitcnt vmcnt(0)
	v_lshl_add_u32 v1, v12, 2, v18
	buffer_load_dword v1, v1, s[0:3], 0 offen
	s_waitcnt vmcnt(0)
	v_cmp_ne_u32_e32 vcc, -1, v1
	s_and_b64 exec, exec, vcc
	s_cbranch_execz .LBB9_13
; %bb.17:                               ;   in Loop: Header=BB9_14 Depth=1
	s_add_u32 s8, s4, s52
	s_addc_u32 s9, s5, s53
	s_add_u32 s4, s4, s54
	v_pk_mov_b32 v[14:15], s[8:9], s[8:9] op_sel:[0,1]
	s_addc_u32 s5, s5, s55
	v_mad_i64_i32 v[14:15], s[8:9], v4, s56, v[14:15]
	v_pk_mov_b32 v[16:17], s[4:5], s[4:5] op_sel:[0,1]
	v_mad_i64_i32 v[16:17], s[4:5], v4, s56, v[16:17]
	global_load_dword v20, v[14:15], off
	global_load_dword v21, v[16:17], off
	v_lshrrev_b64 v[14:15], v11, v[6:7]
	v_lshrrev_b64 v[12:13], v12, v[6:7]
	v_and_b32_e32 v11, 1, v14
	v_and_b32_e32 v12, 1, v12
	v_cmp_gt_i32_e32 vcc, v19, v1
	v_mov_b32_e32 v22, v1
	s_waitcnt vmcnt(1)
	v_xor_b32_e32 v20, v20, v11
	s_waitcnt vmcnt(0)
	v_xor_b32_e32 v11, v21, v12
	v_mov_b32_e32 v21, v11
	s_and_saveexec_b64 s[4:5], vcc
; %bb.18:                               ;   in Loop: Header=BB9_14 Depth=1
	v_mov_b32_e32 v21, v20
	v_mov_b32_e32 v20, v11
	;; [unrolled: 1-line block ×4, first 2 shown]
; %bb.19:                               ;   in Loop: Header=BB9_14 Depth=1
	s_or_b64 exec, exec, s[4:5]
	s_waitcnt lgkmcnt(0)
	s_load_dword s36, s[26:27], 0x0
	v_mul_lo_u32 v12, v20, s59
	v_mul_lo_u32 v13, v21, s60
	;; [unrolled: 1-line block ×3, first 2 shown]
	v_xor_b32_e32 v12, v12, v13
	v_mul_lo_u32 v1, v19, s57
	v_xor_b32_e32 v11, v12, v11
	v_xor_b32_e32 v12, v11, v1
	v_ashrrev_i32_e32 v1, 31, v12
	s_waitcnt lgkmcnt(0)
	s_ashr_i32 s37, s36, 31
	v_or_b32_e32 v11, s37, v1
	v_cmp_ne_u64_e32 vcc, 0, v[10:11]
                                        ; implicit-def: $vgpr14_vgpr15
	s_and_saveexec_b64 s[4:5], vcc
	s_xor_b64 s[34:35], exec, s[4:5]
	s_cbranch_execz .LBB9_21
; %bb.20:                               ;   in Loop: Header=BB9_14 Depth=1
	v_cvt_f32_u32_e32 v11, s36
	v_cvt_f32_u32_e32 v13, s37
	s_sub_u32 s4, 0, s36
	s_subb_u32 s5, 0, s37
	v_mac_f32_e32 v11, 0x4f800000, v13
	v_rcp_f32_e32 v11, v11
	v_mul_f32_e32 v11, 0x5f7ffffc, v11
	v_mul_f32_e32 v13, 0x2f800000, v11
	v_trunc_f32_e32 v13, v13
	v_mac_f32_e32 v11, 0xcf800000, v13
	v_cvt_u32_f32_e32 v13, v13
	v_cvt_u32_f32_e32 v11, v11
	v_mul_lo_u32 v14, s4, v13
	v_mul_hi_u32 v16, s4, v11
	v_mul_lo_u32 v15, s5, v11
	v_add_u32_e32 v14, v16, v14
	v_mul_lo_u32 v17, s4, v11
	v_add_u32_e32 v14, v14, v15
	v_mul_hi_u32 v16, v11, v17
	v_mul_lo_u32 v23, v11, v14
	v_mul_hi_u32 v15, v11, v14
	v_add_co_u32_e32 v16, vcc, v16, v23
	v_addc_co_u32_e32 v15, vcc, 0, v15, vcc
	v_mul_hi_u32 v24, v13, v17
	v_mul_lo_u32 v17, v13, v17
	v_add_co_u32_e32 v16, vcc, v16, v17
	v_mul_hi_u32 v23, v13, v14
	v_addc_co_u32_e32 v15, vcc, v15, v24, vcc
	v_addc_co_u32_e32 v16, vcc, 0, v23, vcc
	v_mul_lo_u32 v14, v13, v14
	v_add_co_u32_e32 v14, vcc, v15, v14
	v_addc_co_u32_e32 v15, vcc, 0, v16, vcc
	v_add_co_u32_e32 v11, vcc, v11, v14
	v_addc_co_u32_e32 v13, vcc, v13, v15, vcc
	v_mul_lo_u32 v14, s4, v13
	v_mul_hi_u32 v15, s4, v11
	v_add_u32_e32 v14, v15, v14
	v_mul_lo_u32 v15, s5, v11
	v_add_u32_e32 v14, v14, v15
	v_mul_lo_u32 v16, s4, v11
	v_mul_hi_u32 v17, v13, v16
	v_mul_lo_u32 v23, v13, v16
	v_mul_lo_u32 v25, v11, v14
	v_mul_hi_u32 v16, v11, v16
	v_mul_hi_u32 v24, v11, v14
	v_add_co_u32_e32 v16, vcc, v16, v25
	v_addc_co_u32_e32 v24, vcc, 0, v24, vcc
	v_add_co_u32_e32 v16, vcc, v16, v23
	v_mul_hi_u32 v15, v13, v14
	v_addc_co_u32_e32 v16, vcc, v24, v17, vcc
	v_addc_co_u32_e32 v15, vcc, 0, v15, vcc
	v_mul_lo_u32 v14, v13, v14
	v_add_co_u32_e32 v14, vcc, v16, v14
	v_addc_co_u32_e32 v15, vcc, 0, v15, vcc
	v_add_co_u32_e32 v11, vcc, v11, v14
	v_addc_co_u32_e32 v13, vcc, v13, v15, vcc
	v_mad_u64_u32 v[14:15], s[4:5], v12, v13, 0
	v_mul_hi_u32 v16, v12, v11
	v_add_co_u32_e32 v23, vcc, v16, v14
	v_addc_co_u32_e32 v24, vcc, 0, v15, vcc
	v_mad_u64_u32 v[16:17], s[4:5], v1, v11, 0
	v_add_co_u32_e32 v11, vcc, v23, v16
	v_mad_u64_u32 v[14:15], s[4:5], v1, v13, 0
	v_addc_co_u32_e32 v11, vcc, v24, v17, vcc
	v_addc_co_u32_e32 v13, vcc, 0, v15, vcc
	v_add_co_u32_e32 v11, vcc, v11, v14
	v_addc_co_u32_e32 v13, vcc, 0, v13, vcc
	v_mul_lo_u32 v16, s37, v11
	v_mul_lo_u32 v13, s36, v13
	v_mad_u64_u32 v[14:15], s[4:5], s36, v11, 0
	v_add3_u32 v11, v15, v13, v16
	v_sub_u32_e32 v13, v1, v11
	v_mov_b32_e32 v15, s37
	v_sub_co_u32_e32 v12, vcc, v12, v14
	v_subb_co_u32_e64 v13, s[4:5], v13, v15, vcc
	v_subrev_co_u32_e64 v14, s[4:5], s36, v12
	v_subbrev_co_u32_e64 v16, s[8:9], 0, v13, s[4:5]
	v_cmp_le_u32_e64 s[8:9], s37, v16
	v_cndmask_b32_e64 v17, 0, -1, s[8:9]
	v_cmp_le_u32_e64 s[8:9], s36, v14
	v_subb_co_u32_e32 v1, vcc, v1, v11, vcc
	v_cndmask_b32_e64 v23, 0, -1, s[8:9]
	v_cmp_eq_u32_e64 s[8:9], s37, v16
	v_subb_co_u32_e64 v13, s[4:5], v13, v15, s[4:5]
	v_cmp_le_u32_e32 vcc, s37, v1
	v_cndmask_b32_e64 v17, v17, v23, s[8:9]
	v_subrev_co_u32_e64 v23, s[4:5], s36, v14
	v_cndmask_b32_e64 v11, 0, -1, vcc
	v_cmp_le_u32_e32 vcc, s36, v12
	v_subbrev_co_u32_e64 v13, s[4:5], 0, v13, s[4:5]
	v_cndmask_b32_e64 v15, 0, -1, vcc
	v_cmp_eq_u32_e32 vcc, s37, v1
	v_cmp_ne_u32_e64 s[4:5], 0, v17
	v_cndmask_b32_e32 v11, v11, v15, vcc
	v_cndmask_b32_e64 v13, v16, v13, s[4:5]
	v_cmp_ne_u32_e32 vcc, 0, v11
	v_cndmask_b32_e32 v15, v1, v13, vcc
	v_cndmask_b32_e64 v1, v14, v23, s[4:5]
	v_cndmask_b32_e32 v14, v12, v1, vcc
                                        ; implicit-def: $vgpr12_vgpr13
.LBB9_21:                               ;   in Loop: Header=BB9_14 Depth=1
	s_andn2_saveexec_b64 s[4:5], s[34:35]
	s_cbranch_execz .LBB9_23
; %bb.22:                               ;   in Loop: Header=BB9_14 Depth=1
	v_cvt_f32_u32_e32 v1, s36
	s_sub_i32 s8, 0, s36
	v_mov_b32_e32 v15, v10
	v_rcp_iflag_f32_e32 v1, v1
	v_mul_f32_e32 v1, 0x4f7ffffe, v1
	v_cvt_u32_f32_e32 v1, v1
	v_mul_lo_u32 v11, s8, v1
	v_mul_hi_u32 v11, v1, v11
	v_add_u32_e32 v1, v1, v11
	v_mul_hi_u32 v1, v12, v1
	v_mul_lo_u32 v1, v1, s36
	v_sub_u32_e32 v1, v12, v1
	v_subrev_u32_e32 v11, s36, v1
	v_cmp_le_u32_e32 vcc, s36, v1
	v_cndmask_b32_e32 v1, v1, v11, vcc
	v_subrev_u32_e32 v11, s36, v1
	v_cmp_le_u32_e32 vcc, s36, v1
	v_cndmask_b32_e32 v14, v1, v11, vcc
.LBB9_23:                               ;   in Loop: Header=BB9_14 Depth=1
	s_or_b64 exec, exec, s[4:5]
	v_lshlrev_b64 v[12:13], 3, v[14:15]
	v_mov_b32_e32 v1, s23
	v_add_co_u32_e32 v12, vcc, s22, v12
	v_addc_co_u32_e32 v13, vcc, v1, v13, vcc
	global_load_dword v16, v[12:13], off offset:4
	v_mov_b32_e32 v11, -1
	s_waitcnt vmcnt(0)
	v_cmp_ne_u32_e32 vcc, -1, v16
	s_and_saveexec_b64 s[4:5], vcc
	s_cbranch_execz .LBB9_37
; %bb.24:                               ;   in Loop: Header=BB9_14 Depth=1
	s_mov_b64 s[8:9], 0
                                        ; implicit-def: $vgpr1
	s_branch .LBB9_26
.LBB9_25:                               ;   in Loop: Header=BB9_26 Depth=2
	s_or_b64 exec, exec, s[36:37]
	s_and_b64 s[34:35], exec, s[34:35]
	s_or_b64 s[8:9], s[34:35], s[8:9]
	v_mov_b32_e32 v1, v12
	s_andn2_b64 exec, exec, s[8:9]
	s_cbranch_execz .LBB9_36
.LBB9_26:                               ;   Parent Loop BB9_14 Depth=1
                                        ; =>  This Inner Loop Header: Depth=2
	v_ashrrev_i32_e32 v17, 31, v16
	v_lshlrev_b64 v[12:13], 3, v[16:17]
	v_mov_b32_e32 v11, s23
	v_add_co_u32_e32 v14, vcc, s22, v12
	v_addc_co_u32_e32 v15, vcc, v11, v13, vcc
	global_load_dword v12, v[14:15], off
	v_mov_b32_e32 v11, s11
                                        ; implicit-def: $sgpr38_sgpr39
	s_waitcnt vmcnt(0)
	v_ashrrev_i32_e32 v13, 31, v12
	v_lshlrev_b64 v[16:17], 2, v[12:13]
	v_add_co_u32_e32 v24, vcc, s10, v16
	v_addc_co_u32_e32 v25, vcc, v11, v17, vcc
	global_load_dword v11, v[24:25], off
	s_waitcnt vmcnt(0)
	v_cmp_ne_u32_e64 s[34:35], v11, v19
	v_cmp_eq_u32_e32 vcc, v11, v19
	s_and_saveexec_b64 s[36:37], vcc
	s_cbranch_execz .LBB9_32
; %bb.27:                               ;   in Loop: Header=BB9_26 Depth=2
	v_mov_b32_e32 v11, s13
	v_add_co_u32_e32 v24, vcc, s12, v16
	v_addc_co_u32_e32 v25, vcc, v11, v17, vcc
	global_load_dword v11, v[24:25], off
                                        ; implicit-def: $sgpr38_sgpr39
	s_waitcnt vmcnt(0)
	v_cmp_ne_u32_e64 s[40:41], v11, v22
	v_cmp_eq_u32_e32 vcc, v11, v22
	s_and_saveexec_b64 s[42:43], vcc
	s_cbranch_execz .LBB9_31
; %bb.28:                               ;   in Loop: Header=BB9_26 Depth=2
	v_mov_b32_e32 v11, s15
	v_add_co_u32_e32 v24, vcc, s14, v16
	v_addc_co_u32_e32 v25, vcc, v11, v17, vcc
	global_load_dword v11, v[24:25], off
                                        ; implicit-def: $sgpr38_sgpr39
	s_waitcnt vmcnt(0)
	v_cmp_ne_u32_e64 s[44:45], v11, v20
	v_cmp_eq_u32_e32 vcc, v11, v20
	s_and_saveexec_b64 s[46:47], vcc
	s_cbranch_execz .LBB9_30
; %bb.29:                               ;   in Loop: Header=BB9_26 Depth=2
	v_mov_b32_e32 v11, s17
	v_add_co_u32_e32 v16, vcc, s16, v16
	v_addc_co_u32_e32 v17, vcc, v11, v17, vcc
	global_load_dword v11, v[16:17], off
	s_andn2_b64 s[44:45], s[44:45], exec
	s_mov_b64 s[38:39], 0
	s_waitcnt vmcnt(0)
	v_cmp_ne_u32_e32 vcc, v11, v21
	s_and_b64 s[62:63], vcc, exec
	s_or_b64 s[44:45], s[44:45], s[62:63]
.LBB9_30:                               ;   in Loop: Header=BB9_26 Depth=2
	s_or_b64 exec, exec, s[46:47]
	s_andn2_b64 s[40:41], s[40:41], exec
	s_and_b64 s[44:45], s[44:45], exec
	s_or_b64 s[40:41], s[40:41], s[44:45]
.LBB9_31:                               ;   in Loop: Header=BB9_26 Depth=2
	s_or_b64 exec, exec, s[42:43]
	s_andn2_b64 s[34:35], s[34:35], exec
	s_and_b64 s[40:41], s[40:41], exec
	s_or_b64 s[34:35], s[34:35], s[40:41]
.LBB9_32:                               ;   in Loop: Header=BB9_26 Depth=2
	s_or_b64 exec, exec, s[36:37]
	s_and_saveexec_b64 s[36:37], s[34:35]
; %bb.33:                               ;   in Loop: Header=BB9_26 Depth=2
	s_or_b64 s[38:39], s[38:39], exec
	v_mov_b32_e32 v12, v1
; %bb.34:                               ;   in Loop: Header=BB9_26 Depth=2
	s_or_b64 exec, exec, s[36:37]
	s_mov_b64 s[34:35], -1
	v_mov_b32_e32 v11, v12
                                        ; implicit-def: $vgpr16
	s_and_saveexec_b64 s[36:37], s[38:39]
	s_cbranch_execz .LBB9_25
; %bb.35:                               ;   in Loop: Header=BB9_26 Depth=2
	global_load_dword v16, v[14:15], off offset:4
	v_mov_b32_e32 v11, -1
	s_waitcnt vmcnt(0)
	v_cmp_eq_u32_e32 vcc, -1, v16
	s_orn2_b64 s[34:35], vcc, exec
	s_branch .LBB9_25
.LBB9_36:                               ;   in Loop: Header=BB9_14 Depth=1
	s_or_b64 exec, exec, s[8:9]
.LBB9_37:                               ;   in Loop: Header=BB9_14 Depth=1
	s_or_b64 exec, exec, s[4:5]
	v_cmp_ne_u32_e32 vcc, -1, v11
	s_and_b64 exec, exec, vcc
	s_cbranch_execz .LBB9_13
; %bb.38:                               ;   in Loop: Header=BB9_14 Depth=1
	s_lshl_b32 s4, s18, 2
	v_add_u32_e32 v1, s4, v3
	buffer_store_dword v11, v1, s[0:3], 0 offen
	s_branch .LBB9_13
.LBB9_39:
	s_or_b64 exec, exec, s[24:25]
	v_mov_b32_e32 v1, 0
	v_lshl_add_u32 v42, v0, 2, v1
	buffer_load_dword v1, v42, s[0:3], 0 offen
	v_add_u32_e32 v2, 1, v2
	s_waitcnt vmcnt(0)
	v_cmp_ne_u32_e32 vcc, v1, v2
	s_and_b64 exec, exec, vcc
	s_cbranch_execz .LBB9_41
; %bb.40:
	s_load_dwordx4 s[40:43], s[6:7], 0x48
	s_load_dwordx2 s[38:39], s[6:7], 0x58
	s_mov_b64 s[4:5], src_private_base
	v_mov_b32_e32 v1, v4
	v_mov_b32_e32 v2, s20
	;; [unrolled: 1-line block ×14, first 2 shown]
	s_waitcnt lgkmcnt(0)
	v_mov_b32_e32 v16, s42
	v_mov_b32_e32 v17, s43
	;; [unrolled: 1-line block ×5, first 2 shown]
	s_getpc_b64 s[6:7]
	s_add_u32 s6, s6, _Z10BuildSubgriiPN2rw7LibraryEPimS2_S2_S2_S2_S2_PNS_9TableNodeEi@rel32@lo+4
	s_addc_u32 s7, s7, _Z10BuildSubgriiPN2rw7LibraryEPimS2_S2_S2_S2_S2_PNS_9TableNodeEi@rel32@hi+12
	s_swappc_b64 s[30:31], s[6:7]
	buffer_load_dword v0, v42, s[0:3], 0 offen
	v_mov_b32_e32 v1, s43
	v_add_co_u32_e32 v2, vcc, s42, v40
	v_addc_co_u32_e32 v3, vcc, v1, v41, vcc
	v_mov_b32_e32 v6, s43
	s_waitcnt vmcnt(0)
	v_ashrrev_i32_e32 v1, 31, v0
	v_lshlrev_b64 v[4:5], 2, v[0:1]
	v_add_co_u32_e32 v4, vcc, s42, v4
	v_addc_co_u32_e32 v5, vcc, v6, v5, vcc
	global_load_dword v1, v[4:5], off
	global_load_dword v6, v[2:3], off offset:4
	v_lshlrev_b32_e32 v0, 1, v0
	v_mov_b32_e32 v2, s39
	s_waitcnt vmcnt(0)
	v_xad_u32 v3, v6, v1, v0
	v_add_co_u32_e32 v0, vcc, s38, v40
	v_addc_co_u32_e32 v1, vcc, v2, v41, vcc
	global_store_dword v[0:1], v3, off offset:4
.LBB9_41:
	s_endpgm
	.section	.rodata,"a",@progbits
	.p2align	6, 0x0
	.amdhsa_kernel _Z12ReplaceSubgriPiS_S_S_S_PN2rw3CutEPNS0_7LibraryEPNS0_9TableNodeES6_S_S_
		.amdhsa_group_segment_fixed_size 28672
		.amdhsa_private_segment_fixed_size 352
		.amdhsa_kernarg_size 352
		.amdhsa_user_sgpr_count 10
		.amdhsa_user_sgpr_private_segment_buffer 1
		.amdhsa_user_sgpr_dispatch_ptr 1
		.amdhsa_user_sgpr_queue_ptr 0
		.amdhsa_user_sgpr_kernarg_segment_ptr 1
		.amdhsa_user_sgpr_dispatch_id 0
		.amdhsa_user_sgpr_flat_scratch_init 1
		.amdhsa_user_sgpr_kernarg_preload_length 0
		.amdhsa_user_sgpr_kernarg_preload_offset 0
		.amdhsa_user_sgpr_private_segment_size 0
		.amdhsa_uses_dynamic_stack 1
		.amdhsa_system_sgpr_private_segment_wavefront_offset 1
		.amdhsa_system_sgpr_workgroup_id_x 1
		.amdhsa_system_sgpr_workgroup_id_y 0
		.amdhsa_system_sgpr_workgroup_id_z 0
		.amdhsa_system_sgpr_workgroup_info 0
		.amdhsa_system_vgpr_workitem_id 2
		.amdhsa_next_free_vgpr 108
		.amdhsa_next_free_sgpr 64
		.amdhsa_accum_offset 64
		.amdhsa_reserve_vcc 1
		.amdhsa_reserve_flat_scratch 1
		.amdhsa_float_round_mode_32 0
		.amdhsa_float_round_mode_16_64 0
		.amdhsa_float_denorm_mode_32 3
		.amdhsa_float_denorm_mode_16_64 3
		.amdhsa_dx10_clamp 1
		.amdhsa_ieee_mode 1
		.amdhsa_fp16_overflow 0
		.amdhsa_tg_split 0
		.amdhsa_exception_fp_ieee_invalid_op 0
		.amdhsa_exception_fp_denorm_src 0
		.amdhsa_exception_fp_ieee_div_zero 0
		.amdhsa_exception_fp_ieee_overflow 0
		.amdhsa_exception_fp_ieee_underflow 0
		.amdhsa_exception_fp_ieee_inexact 0
		.amdhsa_exception_int_div_zero 0
	.end_amdhsa_kernel
	.text
.Lfunc_end9:
	.size	_Z12ReplaceSubgriPiS_S_S_S_PN2rw3CutEPNS0_7LibraryEPNS0_9TableNodeES6_S_S_, .Lfunc_end9-_Z12ReplaceSubgriPiS_S_S_S_PN2rw3CutEPNS0_7LibraryEPNS0_9TableNodeES6_S_S_
                                        ; -- End function
	.section	.AMDGPU.csdata,"",@progbits
; Kernel info:
; codeLenInByte = 3344
; NumSgprs: 70
; NumVgprs: 64
; NumAgprs: 44
; TotalNumVgprs: 108
; ScratchSize: 352
; MemoryBound: 0
; FloatMode: 240
; IeeeMode: 1
; LDSByteSize: 28672 bytes/workgroup (compile time only)
; SGPRBlocks: 8
; VGPRBlocks: 13
; NumSGPRsForWavesPerEU: 70
; NumVGPRsForWavesPerEU: 108
; AccumOffset: 64
; Occupancy: 4
; WaveLimiterHint : 1
; COMPUTE_PGM_RSRC2:SCRATCH_EN: 1
; COMPUTE_PGM_RSRC2:USER_SGPR: 10
; COMPUTE_PGM_RSRC2:TRAP_HANDLER: 0
; COMPUTE_PGM_RSRC2:TGID_X_EN: 1
; COMPUTE_PGM_RSRC2:TGID_Y_EN: 0
; COMPUTE_PGM_RSRC2:TGID_Z_EN: 0
; COMPUTE_PGM_RSRC2:TIDIG_COMP_CNT: 2
; COMPUTE_PGM_RSRC3_GFX90A:ACCUM_OFFSET: 15
; COMPUTE_PGM_RSRC3_GFX90A:TG_SPLIT: 0
	.text
	.protected	_Z15DetachAndAttachiPiS_S_ ; -- Begin function _Z15DetachAndAttachiPiS_S_
	.globl	_Z15DetachAndAttachiPiS_S_
	.p2align	8
	.type	_Z15DetachAndAttachiPiS_S_,@function
_Z15DetachAndAttachiPiS_S_:             ; @_Z15DetachAndAttachiPiS_S_
; %bb.0:
	s_load_dword s0, s[4:5], 0x2c
	s_load_dword s1, s[4:5], 0x0
	s_waitcnt lgkmcnt(0)
	s_and_b32 s0, s0, 0xffff
	s_mul_i32 s6, s6, s0
	v_add_u32_e32 v0, s6, v0
	v_cmp_gt_u32_e32 vcc, s1, v0
	s_and_saveexec_b64 s[0:1], vcc
	s_cbranch_execz .LBB10_3
; %bb.1:
	s_load_dwordx2 s[0:1], s[4:5], 0x18
	v_ashrrev_i32_e32 v1, 31, v0
	v_lshlrev_b64 v[0:1], 2, v[0:1]
	s_waitcnt lgkmcnt(0)
	v_mov_b32_e32 v3, s1
	v_add_co_u32_e32 v2, vcc, s0, v0
	v_addc_co_u32_e32 v3, vcc, v3, v1, vcc
	global_load_dword v4, v[2:3], off offset:4
	s_waitcnt vmcnt(0)
	v_cmp_ne_u32_e32 vcc, -1, v4
	s_and_b64 exec, exec, vcc
	s_cbranch_execz .LBB10_3
; %bb.2:
	s_load_dwordx4 s[0:3], s[4:5], 0x8
	v_mov_b32_e32 v6, 1
	s_waitcnt lgkmcnt(0)
	v_mov_b32_e32 v5, s1
	v_add_co_u32_e32 v4, vcc, s0, v0
	v_addc_co_u32_e32 v5, vcc, v5, v1, vcc
	global_store_dword v[4:5], v6, off offset:4
	global_load_dword v2, v[2:3], off offset:4
	v_mov_b32_e32 v3, s3
	v_add_co_u32_e32 v0, vcc, s2, v0
	v_addc_co_u32_e32 v1, vcc, v3, v1, vcc
	s_waitcnt vmcnt(0)
	global_store_dword v[0:1], v2, off offset:4
.LBB10_3:
	s_endpgm
	.section	.rodata,"a",@progbits
	.p2align	6, 0x0
	.amdhsa_kernel _Z15DetachAndAttachiPiS_S_
		.amdhsa_group_segment_fixed_size 0
		.amdhsa_private_segment_fixed_size 0
		.amdhsa_kernarg_size 288
		.amdhsa_user_sgpr_count 6
		.amdhsa_user_sgpr_private_segment_buffer 1
		.amdhsa_user_sgpr_dispatch_ptr 0
		.amdhsa_user_sgpr_queue_ptr 0
		.amdhsa_user_sgpr_kernarg_segment_ptr 1
		.amdhsa_user_sgpr_dispatch_id 0
		.amdhsa_user_sgpr_flat_scratch_init 0
		.amdhsa_user_sgpr_kernarg_preload_length 0
		.amdhsa_user_sgpr_kernarg_preload_offset 0
		.amdhsa_user_sgpr_private_segment_size 0
		.amdhsa_uses_dynamic_stack 0
		.amdhsa_system_sgpr_private_segment_wavefront_offset 0
		.amdhsa_system_sgpr_workgroup_id_x 1
		.amdhsa_system_sgpr_workgroup_id_y 0
		.amdhsa_system_sgpr_workgroup_id_z 0
		.amdhsa_system_sgpr_workgroup_info 0
		.amdhsa_system_vgpr_workitem_id 0
		.amdhsa_next_free_vgpr 7
		.amdhsa_next_free_sgpr 7
		.amdhsa_accum_offset 8
		.amdhsa_reserve_vcc 1
		.amdhsa_reserve_flat_scratch 0
		.amdhsa_float_round_mode_32 0
		.amdhsa_float_round_mode_16_64 0
		.amdhsa_float_denorm_mode_32 3
		.amdhsa_float_denorm_mode_16_64 3
		.amdhsa_dx10_clamp 1
		.amdhsa_ieee_mode 1
		.amdhsa_fp16_overflow 0
		.amdhsa_tg_split 0
		.amdhsa_exception_fp_ieee_invalid_op 0
		.amdhsa_exception_fp_denorm_src 0
		.amdhsa_exception_fp_ieee_div_zero 0
		.amdhsa_exception_fp_ieee_overflow 0
		.amdhsa_exception_fp_ieee_underflow 0
		.amdhsa_exception_fp_ieee_inexact 0
		.amdhsa_exception_int_div_zero 0
	.end_amdhsa_kernel
	.text
.Lfunc_end10:
	.size	_Z15DetachAndAttachiPiS_S_, .Lfunc_end10-_Z15DetachAndAttachiPiS_S_
                                        ; -- End function
	.section	.AMDGPU.csdata,"",@progbits
; Kernel info:
; codeLenInByte = 180
; NumSgprs: 11
; NumVgprs: 7
; NumAgprs: 0
; TotalNumVgprs: 7
; ScratchSize: 0
; MemoryBound: 0
; FloatMode: 240
; IeeeMode: 1
; LDSByteSize: 0 bytes/workgroup (compile time only)
; SGPRBlocks: 1
; VGPRBlocks: 0
; NumSGPRsForWavesPerEU: 11
; NumVGPRsForWavesPerEU: 7
; AccumOffset: 8
; Occupancy: 8
; WaveLimiterHint : 0
; COMPUTE_PGM_RSRC2:SCRATCH_EN: 0
; COMPUTE_PGM_RSRC2:USER_SGPR: 6
; COMPUTE_PGM_RSRC2:TRAP_HANDLER: 0
; COMPUTE_PGM_RSRC2:TGID_X_EN: 1
; COMPUTE_PGM_RSRC2:TGID_Y_EN: 0
; COMPUTE_PGM_RSRC2:TGID_Z_EN: 0
; COMPUTE_PGM_RSRC2:TIDIG_COMP_CNT: 0
; COMPUTE_PGM_RSRC3_GFX90A:ACCUM_OFFSET: 1
; COMPUTE_PGM_RSRC3_GFX90A:TG_SPLIT: 0
	.text
	.protected	_Z9printCutsiPN2rw3CutE ; -- Begin function _Z9printCutsiPN2rw3CutE
	.globl	_Z9printCutsiPN2rw3CutE
	.p2align	8
	.type	_Z9printCutsiPN2rw3CutE,@function
_Z9printCutsiPN2rw3CutE:                ; @_Z9printCutsiPN2rw3CutE
; %bb.0:
	s_load_dword s0, s[4:5], 0x0
	s_load_dwordx2 s[2:3], s[4:5], 0x8
	s_load_dwordx2 s[6:7], s[4:5], 0x60
	v_mbcnt_lo_u32_b32 v0, -1, 0
	s_mov_b32 s8, 0
	v_mbcnt_hi_u32_b32 v36, -1, v0
	s_waitcnt lgkmcnt(0)
	s_lshl_b32 s26, s0, 3
	s_getpc_b64 s[0:1]
	s_add_u32 s0, s0, .str.3@rel32@lo+4
	s_addc_u32 s1, s1, .str.3@rel32@hi+12
	v_mov_b32_e32 v3, 0
	s_cmp_lg_u64 s[0:1], 0
	s_cselect_b64 s[4:5], -1, 0
	s_mov_b32 s9, s8
	s_mov_b32 s10, s8
	;; [unrolled: 1-line block ×3, first 2 shown]
	s_movk_i32 s27, 0xff1f
	s_movk_i32 s28, 0xff1d
	v_mov_b32_e32 v6, 2
	v_mov_b32_e32 v7, 1
	v_lshlrev_b32_e32 v37, 6, v36
	v_mov_b32_e32 v8, 33
	v_mov_b32_e32 v9, v3
	;; [unrolled: 1-line block ×4, first 2 shown]
	s_mov_b32 s29, s8
	s_branch .LBB11_2
.LBB11_1:                               ;   in Loop: Header=BB11_2 Depth=1
	s_or_b64 exec, exec, s[14:15]
	s_add_i32 s29, s29, 1
	s_cmp_eq_u32 s29, 8
	s_cbranch_scc1 .LBB11_349
.LBB11_2:                               ; =>This Loop Header: Depth=1
                                        ;     Child Loop BB11_5 Depth 2
                                        ;     Child Loop BB11_13 Depth 2
	;; [unrolled: 1-line block ×9, first 2 shown]
                                        ;       Child Loop BB11_34 Depth 3
                                        ;       Child Loop BB11_41 Depth 3
	;; [unrolled: 1-line block ×11, first 2 shown]
                                        ;     Child Loop BB11_144 Depth 2
                                        ;     Child Loop BB11_152 Depth 2
	;; [unrolled: 1-line block ×32, first 2 shown]
	s_add_i32 s0, s29, s26
	s_mul_hi_i32 s1, s0, 28
	s_mul_i32 s0, s0, 28
	s_add_u32 s0, s2, s0
	s_addc_u32 s1, s3, s1
	global_load_ubyte v42, v3, s[0:1] offset:24
	global_load_dword v39, v3, s[0:1] offset:20
	global_load_dwordx4 v[12:15], v3, s[0:1] offset:4
	v_readfirstlane_b32 s0, v36
	v_cmp_eq_u32_e64 s[0:1], s0, v36
	v_pk_mov_b32 v[0:1], 0, 0
	s_and_saveexec_b64 s[12:13], s[0:1]
	s_cbranch_execz .LBB11_8
; %bb.3:                                ;   in Loop: Header=BB11_2 Depth=1
	global_load_dwordx2 v[18:19], v3, s[6:7] offset:24 glc
	s_waitcnt vmcnt(0)
	buffer_invl2
	buffer_wbinvl1_vol
	global_load_dwordx2 v[0:1], v3, s[6:7] offset:40
	global_load_dwordx2 v[4:5], v3, s[6:7]
	s_waitcnt vmcnt(1)
	v_and_b32_e32 v0, v0, v18
	v_and_b32_e32 v1, v1, v19
	v_mul_lo_u32 v1, v1, 24
	v_mul_hi_u32 v2, v0, 24
	v_mul_lo_u32 v0, v0, 24
	v_add_u32_e32 v1, v2, v1
	s_waitcnt vmcnt(0)
	v_add_co_u32_e32 v0, vcc, v4, v0
	v_addc_co_u32_e32 v1, vcc, v5, v1, vcc
	global_load_dwordx2 v[16:17], v[0:1], off glc
	s_waitcnt vmcnt(0)
	global_atomic_cmpswap_x2 v[0:1], v3, v[16:19], s[6:7] offset:24 glc
	s_waitcnt vmcnt(0)
	buffer_invl2
	buffer_wbinvl1_vol
	v_cmp_ne_u64_e32 vcc, v[0:1], v[18:19]
	s_and_saveexec_b64 s[14:15], vcc
	s_cbranch_execz .LBB11_7
; %bb.4:                                ;   in Loop: Header=BB11_2 Depth=1
	s_mov_b64 s[16:17], 0
.LBB11_5:                               ;   Parent Loop BB11_2 Depth=1
                                        ; =>  This Inner Loop Header: Depth=2
	s_sleep 1
	global_load_dwordx2 v[4:5], v3, s[6:7] offset:40
	global_load_dwordx2 v[16:17], v3, s[6:7]
	v_pk_mov_b32 v[18:19], v[0:1], v[0:1] op_sel:[0,1]
	s_waitcnt vmcnt(1)
	v_and_b32_e32 v0, v4, v18
	s_waitcnt vmcnt(0)
	v_mad_u64_u32 v[0:1], s[18:19], v0, 24, v[16:17]
	v_and_b32_e32 v5, v5, v19
	v_mov_b32_e32 v2, v1
	v_mad_u64_u32 v[4:5], s[18:19], v5, 24, v[2:3]
	v_mov_b32_e32 v1, v4
	global_load_dwordx2 v[16:17], v[0:1], off glc
	s_waitcnt vmcnt(0)
	global_atomic_cmpswap_x2 v[0:1], v3, v[16:19], s[6:7] offset:24 glc
	s_waitcnt vmcnt(0)
	buffer_invl2
	buffer_wbinvl1_vol
	v_cmp_eq_u64_e32 vcc, v[0:1], v[18:19]
	s_or_b64 s[16:17], vcc, s[16:17]
	s_andn2_b64 exec, exec, s[16:17]
	s_cbranch_execnz .LBB11_5
; %bb.6:                                ;   in Loop: Header=BB11_2 Depth=1
	s_or_b64 exec, exec, s[16:17]
.LBB11_7:                               ;   in Loop: Header=BB11_2 Depth=1
	s_or_b64 exec, exec, s[14:15]
.LBB11_8:                               ;   in Loop: Header=BB11_2 Depth=1
	s_or_b64 exec, exec, s[12:13]
	global_load_dwordx2 v[4:5], v3, s[6:7] offset:40
	global_load_dwordx4 v[16:19], v3, s[6:7]
	v_readfirstlane_b32 s12, v0
	v_readfirstlane_b32 s13, v1
	s_mov_b64 s[14:15], exec
	s_waitcnt vmcnt(1)
	v_readfirstlane_b32 s16, v4
	v_readfirstlane_b32 s17, v5
	s_and_b64 s[16:17], s[12:13], s[16:17]
	s_mul_i32 s18, s17, 24
	s_mul_hi_u32 s19, s16, 24
	s_mul_i32 s20, s16, 24
	s_add_i32 s18, s19, s18
	v_mov_b32_e32 v1, s18
	s_waitcnt vmcnt(0)
	v_add_co_u32_e32 v0, vcc, s20, v16
	v_addc_co_u32_e32 v1, vcc, v17, v1, vcc
	s_and_saveexec_b64 s[18:19], s[0:1]
	s_cbranch_execz .LBB11_10
; %bb.9:                                ;   in Loop: Header=BB11_2 Depth=1
	v_pk_mov_b32 v[4:5], s[14:15], s[14:15] op_sel:[0,1]
	global_store_dwordx4 v[0:1], v[4:7], off offset:8
.LBB11_10:                              ;   in Loop: Header=BB11_2 Depth=1
	s_or_b64 exec, exec, s[18:19]
	s_lshl_b64 s[14:15], s[16:17], 12
	v_mov_b32_e32 v2, s15
	v_add_co_u32_e32 v4, vcc, s14, v18
	v_addc_co_u32_e32 v5, vcc, v19, v2, vcc
	v_pk_mov_b32 v[20:21], s[10:11], s[10:11] op_sel:[0,1]
	v_readfirstlane_b32 s14, v4
	v_readfirstlane_b32 s15, v5
	v_pk_mov_b32 v[18:19], s[8:9], s[8:9] op_sel:[0,1]
	s_nop 3
	global_store_dwordx4 v37, v[8:11], s[14:15]
	global_store_dwordx4 v37, v[18:21], s[14:15] offset:16
	global_store_dwordx4 v37, v[18:21], s[14:15] offset:32
	;; [unrolled: 1-line block ×3, first 2 shown]
	s_and_saveexec_b64 s[14:15], s[0:1]
	s_cbranch_execz .LBB11_18
; %bb.11:                               ;   in Loop: Header=BB11_2 Depth=1
	global_load_dwordx2 v[24:25], v3, s[6:7] offset:32 glc
	global_load_dwordx2 v[18:19], v3, s[6:7] offset:40
	v_mov_b32_e32 v22, s12
	v_mov_b32_e32 v23, s13
	s_waitcnt vmcnt(0)
	v_readfirstlane_b32 s16, v18
	v_readfirstlane_b32 s17, v19
	s_and_b64 s[16:17], s[16:17], s[12:13]
	s_mul_i32 s17, s17, 24
	s_mul_hi_u32 s18, s16, 24
	s_mul_i32 s16, s16, 24
	s_add_i32 s17, s18, s17
	v_mov_b32_e32 v2, s17
	v_add_co_u32_e32 v20, vcc, s16, v16
	v_addc_co_u32_e32 v21, vcc, v17, v2, vcc
	global_store_dwordx2 v[20:21], v[24:25], off
	buffer_wbl2
	s_waitcnt vmcnt(0)
	global_atomic_cmpswap_x2 v[18:19], v3, v[22:25], s[6:7] offset:32 glc
	s_waitcnt vmcnt(0)
	v_cmp_ne_u64_e32 vcc, v[18:19], v[24:25]
	s_and_saveexec_b64 s[16:17], vcc
	s_cbranch_execz .LBB11_14
; %bb.12:                               ;   in Loop: Header=BB11_2 Depth=1
	s_mov_b64 s[18:19], 0
.LBB11_13:                              ;   Parent Loop BB11_2 Depth=1
                                        ; =>  This Inner Loop Header: Depth=2
	s_sleep 1
	global_store_dwordx2 v[20:21], v[18:19], off
	v_mov_b32_e32 v16, s12
	v_mov_b32_e32 v17, s13
	buffer_wbl2
	s_waitcnt vmcnt(0)
	global_atomic_cmpswap_x2 v[16:17], v3, v[16:19], s[6:7] offset:32 glc
	s_waitcnt vmcnt(0)
	v_cmp_eq_u64_e32 vcc, v[16:17], v[18:19]
	s_or_b64 s[18:19], vcc, s[18:19]
	v_pk_mov_b32 v[18:19], v[16:17], v[16:17] op_sel:[0,1]
	s_andn2_b64 exec, exec, s[18:19]
	s_cbranch_execnz .LBB11_13
.LBB11_14:                              ;   in Loop: Header=BB11_2 Depth=1
	s_or_b64 exec, exec, s[16:17]
	global_load_dwordx2 v[16:17], v3, s[6:7] offset:16
	s_mov_b64 s[18:19], exec
	v_mbcnt_lo_u32_b32 v2, s18, 0
	v_mbcnt_hi_u32_b32 v2, s19, v2
	v_cmp_eq_u32_e32 vcc, 0, v2
	s_and_saveexec_b64 s[16:17], vcc
	s_cbranch_execz .LBB11_16
; %bb.15:                               ;   in Loop: Header=BB11_2 Depth=1
	s_bcnt1_i32_b64 s18, s[18:19]
	v_mov_b32_e32 v2, s18
	buffer_wbl2
	s_waitcnt vmcnt(0)
	global_atomic_add_x2 v[16:17], v[2:3], off offset:8
.LBB11_16:                              ;   in Loop: Header=BB11_2 Depth=1
	s_or_b64 exec, exec, s[16:17]
	s_waitcnt vmcnt(0)
	global_load_dwordx2 v[18:19], v[16:17], off offset:16
	s_waitcnt vmcnt(0)
	v_cmp_eq_u64_e32 vcc, 0, v[18:19]
	s_cbranch_vccnz .LBB11_18
; %bb.17:                               ;   in Loop: Header=BB11_2 Depth=1
	global_load_dword v2, v[16:17], off offset:24
	buffer_wbl2
	s_waitcnt vmcnt(0)
	global_store_dwordx2 v[18:19], v[2:3], off
	v_and_b32_e32 v2, 0xffffff, v2
	v_readfirstlane_b32 m0, v2
	s_sendmsg sendmsg(MSG_INTERRUPT)
.LBB11_18:                              ;   in Loop: Header=BB11_2 Depth=1
	s_or_b64 exec, exec, s[14:15]
	v_add_co_u32_e32 v4, vcc, v4, v37
	v_addc_co_u32_e32 v5, vcc, 0, v5, vcc
	s_branch .LBB11_22
.LBB11_19:                              ;   in Loop: Header=BB11_22 Depth=2
	s_or_b64 exec, exec, s[14:15]
	v_readfirstlane_b32 s14, v2
	s_cmp_eq_u32 s14, 0
	s_cbranch_scc1 .LBB11_21
; %bb.20:                               ;   in Loop: Header=BB11_22 Depth=2
	s_sleep 1
	s_cbranch_execnz .LBB11_22
	s_branch .LBB11_24
.LBB11_21:                              ;   in Loop: Header=BB11_2 Depth=1
	s_branch .LBB11_24
.LBB11_22:                              ;   Parent Loop BB11_2 Depth=1
                                        ; =>  This Inner Loop Header: Depth=2
	v_mov_b32_e32 v2, 1
	s_and_saveexec_b64 s[14:15], s[0:1]
	s_cbranch_execz .LBB11_19
; %bb.23:                               ;   in Loop: Header=BB11_22 Depth=2
	global_load_dword v2, v[0:1], off offset:20 glc
	s_waitcnt vmcnt(0)
	buffer_invl2
	buffer_wbinvl1_vol
	v_and_b32_e32 v2, 1, v2
	s_branch .LBB11_19
.LBB11_24:                              ;   in Loop: Header=BB11_2 Depth=1
	global_load_dwordx2 v[0:1], v[4:5], off
	s_and_saveexec_b64 s[14:15], s[0:1]
	s_cbranch_execz .LBB11_28
; %bb.25:                               ;   in Loop: Header=BB11_2 Depth=1
	global_load_dwordx2 v[4:5], v3, s[6:7] offset:40
	global_load_dwordx2 v[20:21], v3, s[6:7] offset:24 glc
	global_load_dwordx2 v[22:23], v3, s[6:7]
	v_mov_b32_e32 v2, s13
	s_waitcnt vmcnt(2)
	v_add_co_u32_e32 v19, vcc, 1, v4
	v_addc_co_u32_e32 v24, vcc, 0, v5, vcc
	v_add_co_u32_e32 v16, vcc, s12, v19
	v_addc_co_u32_e32 v17, vcc, v24, v2, vcc
	v_cmp_eq_u64_e32 vcc, 0, v[16:17]
	v_cndmask_b32_e32 v17, v17, v24, vcc
	v_cndmask_b32_e32 v16, v16, v19, vcc
	v_and_b32_e32 v2, v17, v5
	v_and_b32_e32 v4, v16, v4
	v_mul_lo_u32 v2, v2, 24
	v_mul_hi_u32 v5, v4, 24
	v_mul_lo_u32 v4, v4, 24
	v_add_u32_e32 v2, v5, v2
	s_waitcnt vmcnt(0)
	v_add_co_u32_e32 v4, vcc, v22, v4
	v_addc_co_u32_e32 v5, vcc, v23, v2, vcc
	v_mov_b32_e32 v18, v20
	global_store_dwordx2 v[4:5], v[20:21], off
	v_mov_b32_e32 v19, v21
	buffer_wbl2
	s_waitcnt vmcnt(0)
	global_atomic_cmpswap_x2 v[18:19], v3, v[16:19], s[6:7] offset:24 glc
	s_waitcnt vmcnt(0)
	v_cmp_ne_u64_e32 vcc, v[18:19], v[20:21]
	s_and_b64 exec, exec, vcc
	s_cbranch_execz .LBB11_28
; %bb.26:                               ;   in Loop: Header=BB11_2 Depth=1
	s_mov_b64 s[0:1], 0
.LBB11_27:                              ;   Parent Loop BB11_2 Depth=1
                                        ; =>  This Inner Loop Header: Depth=2
	s_sleep 1
	global_store_dwordx2 v[4:5], v[18:19], off
	buffer_wbl2
	s_waitcnt vmcnt(0)
	global_atomic_cmpswap_x2 v[20:21], v3, v[16:19], s[6:7] offset:24 glc
	s_waitcnt vmcnt(0)
	v_cmp_eq_u64_e32 vcc, v[20:21], v[18:19]
	s_or_b64 s[0:1], vcc, s[0:1]
	v_pk_mov_b32 v[18:19], v[20:21], v[20:21] op_sel:[0,1]
	s_andn2_b64 exec, exec, s[0:1]
	s_cbranch_execnz .LBB11_27
.LBB11_28:                              ;   in Loop: Header=BB11_2 Depth=1
	s_or_b64 exec, exec, s[14:15]
	s_and_b64 vcc, exec, s[4:5]
	s_cbranch_vccz .LBB11_113
; %bb.29:                               ;   in Loop: Header=BB11_2 Depth=1
	s_waitcnt vmcnt(0)
	v_and_b32_e32 v38, 2, v0
	v_and_b32_e32 v16, -3, v0
	v_mov_b32_e32 v17, v1
	s_mov_b64 s[14:15], 0x47
	s_getpc_b64 s[12:13]
	s_add_u32 s12, s12, .str.3@rel32@lo+4
	s_addc_u32 s13, s13, .str.3@rel32@hi+12
	s_branch .LBB11_31
.LBB11_30:                              ;   in Loop: Header=BB11_31 Depth=2
	s_or_b64 exec, exec, s[20:21]
	s_sub_u32 s14, s14, s16
	s_subb_u32 s15, s15, s17
	s_add_u32 s12, s12, s16
	s_addc_u32 s13, s13, s17
	s_cmp_lg_u64 s[14:15], 0
	s_cbranch_scc0 .LBB11_112
.LBB11_31:                              ;   Parent Loop BB11_2 Depth=1
                                        ; =>  This Loop Header: Depth=2
                                        ;       Child Loop BB11_34 Depth 3
                                        ;       Child Loop BB11_41 Depth 3
	;; [unrolled: 1-line block ×11, first 2 shown]
	v_cmp_lt_u64_e64 s[0:1], s[14:15], 56
	s_and_b64 s[0:1], s[0:1], exec
	v_cmp_gt_u64_e64 s[0:1], s[14:15], 7
	s_cselect_b32 s17, s15, 0
	s_cselect_b32 s16, s14, 56
	s_and_b64 vcc, exec, s[0:1]
	s_cbranch_vccnz .LBB11_36
; %bb.32:                               ;   in Loop: Header=BB11_31 Depth=2
	s_mov_b64 s[0:1], 0
	s_cmp_eq_u64 s[14:15], 0
	s_waitcnt vmcnt(0)
	v_pk_mov_b32 v[18:19], 0, 0
	s_cbranch_scc1 .LBB11_35
; %bb.33:                               ;   in Loop: Header=BB11_31 Depth=2
	s_lshl_b64 s[18:19], s[16:17], 3
	s_mov_b64 s[20:21], 0
	v_pk_mov_b32 v[18:19], 0, 0
	s_mov_b64 s[22:23], s[12:13]
.LBB11_34:                              ;   Parent Loop BB11_2 Depth=1
                                        ;     Parent Loop BB11_31 Depth=2
                                        ; =>    This Inner Loop Header: Depth=3
	global_load_ubyte v2, v3, s[22:23]
	s_waitcnt vmcnt(0)
	v_and_b32_e32 v2, 0xffff, v2
	v_lshlrev_b64 v[4:5], s20, v[2:3]
	s_add_u32 s20, s20, 8
	s_addc_u32 s21, s21, 0
	s_add_u32 s22, s22, 1
	s_addc_u32 s23, s23, 0
	v_or_b32_e32 v18, v4, v18
	s_cmp_lg_u32 s18, s20
	v_or_b32_e32 v19, v5, v19
	s_cbranch_scc1 .LBB11_34
.LBB11_35:                              ;   in Loop: Header=BB11_31 Depth=2
	s_mov_b32 s22, 0
	s_andn2_b64 vcc, exec, s[0:1]
	s_mov_b64 s[0:1], s[12:13]
	s_cbranch_vccz .LBB11_37
	s_branch .LBB11_38
.LBB11_36:                              ;   in Loop: Header=BB11_31 Depth=2
                                        ; implicit-def: $vgpr18_vgpr19
                                        ; implicit-def: $sgpr22
	s_mov_b64 s[0:1], s[12:13]
.LBB11_37:                              ;   in Loop: Header=BB11_31 Depth=2
	global_load_dwordx2 v[18:19], v3, s[12:13]
	s_add_i32 s22, s16, -8
	s_add_u32 s0, s12, 8
	s_addc_u32 s1, s13, 0
.LBB11_38:                              ;   in Loop: Header=BB11_31 Depth=2
	s_cmp_gt_u32 s22, 7
	s_cbranch_scc1 .LBB11_42
; %bb.39:                               ;   in Loop: Header=BB11_31 Depth=2
	s_cmp_eq_u32 s22, 0
	s_cbranch_scc1 .LBB11_43
; %bb.40:                               ;   in Loop: Header=BB11_31 Depth=2
	s_mov_b64 s[18:19], 0
	v_pk_mov_b32 v[20:21], 0, 0
	s_mov_b64 s[20:21], 0
.LBB11_41:                              ;   Parent Loop BB11_2 Depth=1
                                        ;     Parent Loop BB11_31 Depth=2
                                        ; =>    This Inner Loop Header: Depth=3
	s_add_u32 s24, s0, s20
	s_addc_u32 s25, s1, s21
	global_load_ubyte v2, v3, s[24:25]
	s_add_u32 s20, s20, 1
	s_addc_u32 s21, s21, 0
	s_waitcnt vmcnt(0)
	v_and_b32_e32 v2, 0xffff, v2
	v_lshlrev_b64 v[4:5], s18, v[2:3]
	s_add_u32 s18, s18, 8
	s_addc_u32 s19, s19, 0
	v_or_b32_e32 v20, v4, v20
	s_cmp_lg_u32 s22, s20
	v_or_b32_e32 v21, v5, v21
	s_cbranch_scc1 .LBB11_41
	s_branch .LBB11_44
.LBB11_42:                              ;   in Loop: Header=BB11_31 Depth=2
                                        ; implicit-def: $vgpr20_vgpr21
                                        ; implicit-def: $sgpr23
	s_branch .LBB11_45
.LBB11_43:                              ;   in Loop: Header=BB11_31 Depth=2
	v_pk_mov_b32 v[20:21], 0, 0
.LBB11_44:                              ;   in Loop: Header=BB11_31 Depth=2
	s_mov_b32 s23, 0
	s_cbranch_execnz .LBB11_46
.LBB11_45:                              ;   in Loop: Header=BB11_31 Depth=2
	global_load_dwordx2 v[20:21], v3, s[0:1]
	s_add_i32 s23, s22, -8
	s_add_u32 s0, s0, 8
	s_addc_u32 s1, s1, 0
.LBB11_46:                              ;   in Loop: Header=BB11_31 Depth=2
	s_cmp_gt_u32 s23, 7
	s_cbranch_scc1 .LBB11_50
; %bb.47:                               ;   in Loop: Header=BB11_31 Depth=2
	s_cmp_eq_u32 s23, 0
	s_cbranch_scc1 .LBB11_51
; %bb.48:                               ;   in Loop: Header=BB11_31 Depth=2
	s_mov_b64 s[18:19], 0
	v_pk_mov_b32 v[22:23], 0, 0
	s_mov_b64 s[20:21], 0
.LBB11_49:                              ;   Parent Loop BB11_2 Depth=1
                                        ;     Parent Loop BB11_31 Depth=2
                                        ; =>    This Inner Loop Header: Depth=3
	s_add_u32 s24, s0, s20
	s_addc_u32 s25, s1, s21
	global_load_ubyte v2, v3, s[24:25]
	s_add_u32 s20, s20, 1
	s_addc_u32 s21, s21, 0
	s_waitcnt vmcnt(0)
	v_and_b32_e32 v2, 0xffff, v2
	v_lshlrev_b64 v[4:5], s18, v[2:3]
	s_add_u32 s18, s18, 8
	s_addc_u32 s19, s19, 0
	v_or_b32_e32 v22, v4, v22
	s_cmp_lg_u32 s23, s20
	v_or_b32_e32 v23, v5, v23
	s_cbranch_scc1 .LBB11_49
	s_branch .LBB11_52
.LBB11_50:                              ;   in Loop: Header=BB11_31 Depth=2
                                        ; implicit-def: $sgpr22
	s_branch .LBB11_53
.LBB11_51:                              ;   in Loop: Header=BB11_31 Depth=2
	v_pk_mov_b32 v[22:23], 0, 0
.LBB11_52:                              ;   in Loop: Header=BB11_31 Depth=2
	s_mov_b32 s22, 0
	s_cbranch_execnz .LBB11_54
.LBB11_53:                              ;   in Loop: Header=BB11_31 Depth=2
	global_load_dwordx2 v[22:23], v3, s[0:1]
	s_add_i32 s22, s23, -8
	s_add_u32 s0, s0, 8
	s_addc_u32 s1, s1, 0
.LBB11_54:                              ;   in Loop: Header=BB11_31 Depth=2
	s_cmp_gt_u32 s22, 7
	s_cbranch_scc1 .LBB11_58
; %bb.55:                               ;   in Loop: Header=BB11_31 Depth=2
	s_cmp_eq_u32 s22, 0
	s_cbranch_scc1 .LBB11_59
; %bb.56:                               ;   in Loop: Header=BB11_31 Depth=2
	s_mov_b64 s[18:19], 0
	v_pk_mov_b32 v[24:25], 0, 0
	s_mov_b64 s[20:21], 0
.LBB11_57:                              ;   Parent Loop BB11_2 Depth=1
                                        ;     Parent Loop BB11_31 Depth=2
                                        ; =>    This Inner Loop Header: Depth=3
	s_add_u32 s24, s0, s20
	s_addc_u32 s25, s1, s21
	global_load_ubyte v2, v3, s[24:25]
	s_add_u32 s20, s20, 1
	s_addc_u32 s21, s21, 0
	s_waitcnt vmcnt(0)
	v_and_b32_e32 v2, 0xffff, v2
	v_lshlrev_b64 v[4:5], s18, v[2:3]
	s_add_u32 s18, s18, 8
	s_addc_u32 s19, s19, 0
	v_or_b32_e32 v24, v4, v24
	s_cmp_lg_u32 s22, s20
	v_or_b32_e32 v25, v5, v25
	s_cbranch_scc1 .LBB11_57
	s_branch .LBB11_60
.LBB11_58:                              ;   in Loop: Header=BB11_31 Depth=2
                                        ; implicit-def: $vgpr24_vgpr25
                                        ; implicit-def: $sgpr23
	s_branch .LBB11_61
.LBB11_59:                              ;   in Loop: Header=BB11_31 Depth=2
	v_pk_mov_b32 v[24:25], 0, 0
.LBB11_60:                              ;   in Loop: Header=BB11_31 Depth=2
	s_mov_b32 s23, 0
	s_cbranch_execnz .LBB11_62
.LBB11_61:                              ;   in Loop: Header=BB11_31 Depth=2
	global_load_dwordx2 v[24:25], v3, s[0:1]
	s_add_i32 s23, s22, -8
	s_add_u32 s0, s0, 8
	s_addc_u32 s1, s1, 0
.LBB11_62:                              ;   in Loop: Header=BB11_31 Depth=2
	s_cmp_gt_u32 s23, 7
	s_cbranch_scc1 .LBB11_66
; %bb.63:                               ;   in Loop: Header=BB11_31 Depth=2
	s_cmp_eq_u32 s23, 0
	s_cbranch_scc1 .LBB11_67
; %bb.64:                               ;   in Loop: Header=BB11_31 Depth=2
	s_mov_b64 s[18:19], 0
	v_pk_mov_b32 v[26:27], 0, 0
	s_mov_b64 s[20:21], 0
.LBB11_65:                              ;   Parent Loop BB11_2 Depth=1
                                        ;     Parent Loop BB11_31 Depth=2
                                        ; =>    This Inner Loop Header: Depth=3
	s_add_u32 s24, s0, s20
	s_addc_u32 s25, s1, s21
	global_load_ubyte v2, v3, s[24:25]
	s_add_u32 s20, s20, 1
	s_addc_u32 s21, s21, 0
	s_waitcnt vmcnt(0)
	v_and_b32_e32 v2, 0xffff, v2
	v_lshlrev_b64 v[4:5], s18, v[2:3]
	s_add_u32 s18, s18, 8
	s_addc_u32 s19, s19, 0
	v_or_b32_e32 v26, v4, v26
	s_cmp_lg_u32 s23, s20
	v_or_b32_e32 v27, v5, v27
	s_cbranch_scc1 .LBB11_65
	s_branch .LBB11_68
.LBB11_66:                              ;   in Loop: Header=BB11_31 Depth=2
                                        ; implicit-def: $sgpr22
	s_branch .LBB11_69
.LBB11_67:                              ;   in Loop: Header=BB11_31 Depth=2
	v_pk_mov_b32 v[26:27], 0, 0
.LBB11_68:                              ;   in Loop: Header=BB11_31 Depth=2
	s_mov_b32 s22, 0
	s_cbranch_execnz .LBB11_70
.LBB11_69:                              ;   in Loop: Header=BB11_31 Depth=2
	global_load_dwordx2 v[26:27], v3, s[0:1]
	s_add_i32 s22, s23, -8
	s_add_u32 s0, s0, 8
	s_addc_u32 s1, s1, 0
.LBB11_70:                              ;   in Loop: Header=BB11_31 Depth=2
	s_cmp_gt_u32 s22, 7
	s_cbranch_scc1 .LBB11_74
; %bb.71:                               ;   in Loop: Header=BB11_31 Depth=2
	s_cmp_eq_u32 s22, 0
	s_cbranch_scc1 .LBB11_75
; %bb.72:                               ;   in Loop: Header=BB11_31 Depth=2
	s_mov_b64 s[18:19], 0
	v_pk_mov_b32 v[28:29], 0, 0
	s_mov_b64 s[20:21], 0
.LBB11_73:                              ;   Parent Loop BB11_2 Depth=1
                                        ;     Parent Loop BB11_31 Depth=2
                                        ; =>    This Inner Loop Header: Depth=3
	s_add_u32 s24, s0, s20
	s_addc_u32 s25, s1, s21
	global_load_ubyte v2, v3, s[24:25]
	s_add_u32 s20, s20, 1
	s_addc_u32 s21, s21, 0
	s_waitcnt vmcnt(0)
	v_and_b32_e32 v2, 0xffff, v2
	v_lshlrev_b64 v[4:5], s18, v[2:3]
	s_add_u32 s18, s18, 8
	s_addc_u32 s19, s19, 0
	v_or_b32_e32 v28, v4, v28
	s_cmp_lg_u32 s22, s20
	v_or_b32_e32 v29, v5, v29
	s_cbranch_scc1 .LBB11_73
	s_branch .LBB11_76
.LBB11_74:                              ;   in Loop: Header=BB11_31 Depth=2
                                        ; implicit-def: $vgpr28_vgpr29
                                        ; implicit-def: $sgpr23
	s_branch .LBB11_77
.LBB11_75:                              ;   in Loop: Header=BB11_31 Depth=2
	v_pk_mov_b32 v[28:29], 0, 0
.LBB11_76:                              ;   in Loop: Header=BB11_31 Depth=2
	s_mov_b32 s23, 0
	s_cbranch_execnz .LBB11_78
.LBB11_77:                              ;   in Loop: Header=BB11_31 Depth=2
	global_load_dwordx2 v[28:29], v3, s[0:1]
	s_add_i32 s23, s22, -8
	s_add_u32 s0, s0, 8
	s_addc_u32 s1, s1, 0
.LBB11_78:                              ;   in Loop: Header=BB11_31 Depth=2
	s_cmp_gt_u32 s23, 7
	s_cbranch_scc1 .LBB11_82
; %bb.79:                               ;   in Loop: Header=BB11_31 Depth=2
	s_cmp_eq_u32 s23, 0
	s_cbranch_scc1 .LBB11_83
; %bb.80:                               ;   in Loop: Header=BB11_31 Depth=2
	s_mov_b64 s[18:19], 0
	v_pk_mov_b32 v[30:31], 0, 0
	s_mov_b64 s[20:21], s[0:1]
.LBB11_81:                              ;   Parent Loop BB11_2 Depth=1
                                        ;     Parent Loop BB11_31 Depth=2
                                        ; =>    This Inner Loop Header: Depth=3
	global_load_ubyte v2, v3, s[20:21]
	s_add_i32 s23, s23, -1
	s_waitcnt vmcnt(0)
	v_and_b32_e32 v2, 0xffff, v2
	v_lshlrev_b64 v[4:5], s18, v[2:3]
	s_add_u32 s18, s18, 8
	s_addc_u32 s19, s19, 0
	s_add_u32 s20, s20, 1
	s_addc_u32 s21, s21, 0
	v_or_b32_e32 v30, v4, v30
	s_cmp_lg_u32 s23, 0
	v_or_b32_e32 v31, v5, v31
	s_cbranch_scc1 .LBB11_81
	s_branch .LBB11_84
.LBB11_82:                              ;   in Loop: Header=BB11_31 Depth=2
	s_branch .LBB11_85
.LBB11_83:                              ;   in Loop: Header=BB11_31 Depth=2
	v_pk_mov_b32 v[30:31], 0, 0
.LBB11_84:                              ;   in Loop: Header=BB11_31 Depth=2
	s_cbranch_execnz .LBB11_86
.LBB11_85:                              ;   in Loop: Header=BB11_31 Depth=2
	global_load_dwordx2 v[30:31], v3, s[0:1]
.LBB11_86:                              ;   in Loop: Header=BB11_31 Depth=2
	v_readfirstlane_b32 s0, v36
	v_cmp_eq_u32_e64 s[0:1], s0, v36
	v_pk_mov_b32 v[4:5], 0, 0
	s_and_saveexec_b64 s[18:19], s[0:1]
	s_cbranch_execz .LBB11_92
; %bb.87:                               ;   in Loop: Header=BB11_31 Depth=2
	global_load_dwordx2 v[34:35], v3, s[6:7] offset:24 glc
	s_waitcnt vmcnt(0)
	buffer_invl2
	buffer_wbinvl1_vol
	global_load_dwordx2 v[4:5], v3, s[6:7] offset:40
	global_load_dwordx2 v[32:33], v3, s[6:7]
	s_waitcnt vmcnt(1)
	v_and_b32_e32 v2, v4, v34
	v_and_b32_e32 v4, v5, v35
	v_mul_lo_u32 v4, v4, 24
	v_mul_hi_u32 v5, v2, 24
	v_mul_lo_u32 v2, v2, 24
	v_add_u32_e32 v5, v5, v4
	s_waitcnt vmcnt(0)
	v_add_co_u32_e32 v4, vcc, v32, v2
	v_addc_co_u32_e32 v5, vcc, v33, v5, vcc
	global_load_dwordx2 v[32:33], v[4:5], off glc
	s_waitcnt vmcnt(0)
	global_atomic_cmpswap_x2 v[4:5], v3, v[32:35], s[6:7] offset:24 glc
	s_waitcnt vmcnt(0)
	buffer_invl2
	buffer_wbinvl1_vol
	v_cmp_ne_u64_e32 vcc, v[4:5], v[34:35]
	s_and_saveexec_b64 s[20:21], vcc
	s_cbranch_execz .LBB11_91
; %bb.88:                               ;   in Loop: Header=BB11_31 Depth=2
	s_mov_b64 s[22:23], 0
.LBB11_89:                              ;   Parent Loop BB11_2 Depth=1
                                        ;     Parent Loop BB11_31 Depth=2
                                        ; =>    This Inner Loop Header: Depth=3
	s_sleep 1
	global_load_dwordx2 v[32:33], v3, s[6:7] offset:40
	global_load_dwordx2 v[40:41], v3, s[6:7]
	v_pk_mov_b32 v[34:35], v[4:5], v[4:5] op_sel:[0,1]
	s_waitcnt vmcnt(1)
	v_and_b32_e32 v2, v32, v34
	s_waitcnt vmcnt(0)
	v_mad_u64_u32 v[4:5], s[24:25], v2, 24, v[40:41]
	v_and_b32_e32 v33, v33, v35
	v_mov_b32_e32 v2, v5
	v_mad_u64_u32 v[32:33], s[24:25], v33, 24, v[2:3]
	v_mov_b32_e32 v5, v32
	global_load_dwordx2 v[32:33], v[4:5], off glc
	s_waitcnt vmcnt(0)
	global_atomic_cmpswap_x2 v[4:5], v3, v[32:35], s[6:7] offset:24 glc
	s_waitcnt vmcnt(0)
	buffer_invl2
	buffer_wbinvl1_vol
	v_cmp_eq_u64_e32 vcc, v[4:5], v[34:35]
	s_or_b64 s[22:23], vcc, s[22:23]
	s_andn2_b64 exec, exec, s[22:23]
	s_cbranch_execnz .LBB11_89
; %bb.90:                               ;   in Loop: Header=BB11_31 Depth=2
	s_or_b64 exec, exec, s[22:23]
.LBB11_91:                              ;   in Loop: Header=BB11_31 Depth=2
	s_or_b64 exec, exec, s[20:21]
.LBB11_92:                              ;   in Loop: Header=BB11_31 Depth=2
	s_or_b64 exec, exec, s[18:19]
	global_load_dwordx2 v[40:41], v3, s[6:7] offset:40
	global_load_dwordx4 v[32:35], v3, s[6:7]
	v_readfirstlane_b32 s18, v4
	v_readfirstlane_b32 s19, v5
	s_mov_b64 s[20:21], exec
	s_waitcnt vmcnt(1)
	v_readfirstlane_b32 s22, v40
	v_readfirstlane_b32 s23, v41
	s_and_b64 s[22:23], s[18:19], s[22:23]
	s_mul_i32 s24, s23, 24
	s_mul_hi_u32 s25, s22, 24
	s_mul_i32 s30, s22, 24
	s_add_i32 s24, s25, s24
	v_mov_b32_e32 v2, s24
	s_waitcnt vmcnt(0)
	v_add_co_u32_e32 v40, vcc, s30, v32
	v_addc_co_u32_e32 v41, vcc, v33, v2, vcc
	s_and_saveexec_b64 s[24:25], s[0:1]
	s_cbranch_execz .LBB11_94
; %bb.93:                               ;   in Loop: Header=BB11_31 Depth=2
	v_pk_mov_b32 v[4:5], s[20:21], s[20:21] op_sel:[0,1]
	global_store_dwordx4 v[40:41], v[4:7], off offset:8
.LBB11_94:                              ;   in Loop: Header=BB11_31 Depth=2
	s_or_b64 exec, exec, s[24:25]
	s_lshl_b64 s[20:21], s[22:23], 12
	v_mov_b32_e32 v2, s21
	v_add_co_u32_e32 v4, vcc, s20, v34
	v_addc_co_u32_e32 v5, vcc, v35, v2, vcc
	v_or_b32_e32 v2, 0, v17
	v_or_b32_e32 v34, v16, v38
	v_cmp_gt_u64_e64 vcc, s[14:15], 56
	s_lshl_b32 s20, s16, 2
	v_cndmask_b32_e32 v17, v2, v17, vcc
	v_cndmask_b32_e32 v2, v34, v16, vcc
	s_add_i32 s20, s20, 28
	s_and_b32 s20, s20, 0x1e0
	v_and_b32_e32 v2, 0xffffff1f, v2
	v_or_b32_e32 v16, s20, v2
	v_readfirstlane_b32 s20, v4
	v_readfirstlane_b32 s21, v5
	s_nop 4
	global_store_dwordx4 v37, v[16:19], s[20:21]
	global_store_dwordx4 v37, v[20:23], s[20:21] offset:16
	global_store_dwordx4 v37, v[24:27], s[20:21] offset:32
	;; [unrolled: 1-line block ×3, first 2 shown]
	s_and_saveexec_b64 s[20:21], s[0:1]
	s_cbranch_execz .LBB11_102
; %bb.95:                               ;   in Loop: Header=BB11_31 Depth=2
	global_load_dwordx2 v[24:25], v3, s[6:7] offset:32 glc
	global_load_dwordx2 v[16:17], v3, s[6:7] offset:40
	v_mov_b32_e32 v22, s18
	v_mov_b32_e32 v23, s19
	s_waitcnt vmcnt(0)
	v_readfirstlane_b32 s22, v16
	v_readfirstlane_b32 s23, v17
	s_and_b64 s[22:23], s[22:23], s[18:19]
	s_mul_i32 s23, s23, 24
	s_mul_hi_u32 s24, s22, 24
	s_mul_i32 s22, s22, 24
	s_add_i32 s23, s24, s23
	v_mov_b32_e32 v2, s23
	v_add_co_u32_e32 v20, vcc, s22, v32
	v_addc_co_u32_e32 v21, vcc, v33, v2, vcc
	global_store_dwordx2 v[20:21], v[24:25], off
	buffer_wbl2
	s_waitcnt vmcnt(0)
	global_atomic_cmpswap_x2 v[18:19], v3, v[22:25], s[6:7] offset:32 glc
	s_waitcnt vmcnt(0)
	v_cmp_ne_u64_e32 vcc, v[18:19], v[24:25]
	s_and_saveexec_b64 s[22:23], vcc
	s_cbranch_execz .LBB11_98
; %bb.96:                               ;   in Loop: Header=BB11_31 Depth=2
	s_mov_b64 s[24:25], 0
.LBB11_97:                              ;   Parent Loop BB11_2 Depth=1
                                        ;     Parent Loop BB11_31 Depth=2
                                        ; =>    This Inner Loop Header: Depth=3
	s_sleep 1
	global_store_dwordx2 v[20:21], v[18:19], off
	v_mov_b32_e32 v16, s18
	v_mov_b32_e32 v17, s19
	buffer_wbl2
	s_waitcnt vmcnt(0)
	global_atomic_cmpswap_x2 v[16:17], v3, v[16:19], s[6:7] offset:32 glc
	s_waitcnt vmcnt(0)
	v_cmp_eq_u64_e32 vcc, v[16:17], v[18:19]
	s_or_b64 s[24:25], vcc, s[24:25]
	v_pk_mov_b32 v[18:19], v[16:17], v[16:17] op_sel:[0,1]
	s_andn2_b64 exec, exec, s[24:25]
	s_cbranch_execnz .LBB11_97
.LBB11_98:                              ;   in Loop: Header=BB11_31 Depth=2
	s_or_b64 exec, exec, s[22:23]
	global_load_dwordx2 v[16:17], v3, s[6:7] offset:16
	s_mov_b64 s[24:25], exec
	v_mbcnt_lo_u32_b32 v2, s24, 0
	v_mbcnt_hi_u32_b32 v2, s25, v2
	v_cmp_eq_u32_e32 vcc, 0, v2
	s_and_saveexec_b64 s[22:23], vcc
	s_cbranch_execz .LBB11_100
; %bb.99:                               ;   in Loop: Header=BB11_31 Depth=2
	s_bcnt1_i32_b64 s24, s[24:25]
	v_mov_b32_e32 v2, s24
	buffer_wbl2
	s_waitcnt vmcnt(0)
	global_atomic_add_x2 v[16:17], v[2:3], off offset:8
.LBB11_100:                             ;   in Loop: Header=BB11_31 Depth=2
	s_or_b64 exec, exec, s[22:23]
	s_waitcnt vmcnt(0)
	global_load_dwordx2 v[18:19], v[16:17], off offset:16
	s_waitcnt vmcnt(0)
	v_cmp_eq_u64_e32 vcc, 0, v[18:19]
	s_cbranch_vccnz .LBB11_102
; %bb.101:                              ;   in Loop: Header=BB11_31 Depth=2
	global_load_dword v2, v[16:17], off offset:24
	buffer_wbl2
	s_waitcnt vmcnt(0)
	global_store_dwordx2 v[18:19], v[2:3], off
	v_and_b32_e32 v2, 0xffffff, v2
	v_readfirstlane_b32 m0, v2
	s_sendmsg sendmsg(MSG_INTERRUPT)
.LBB11_102:                             ;   in Loop: Header=BB11_31 Depth=2
	s_or_b64 exec, exec, s[20:21]
	v_add_co_u32_e32 v4, vcc, v4, v37
	v_addc_co_u32_e32 v5, vcc, 0, v5, vcc
	s_branch .LBB11_106
.LBB11_103:                             ;   in Loop: Header=BB11_106 Depth=3
	s_or_b64 exec, exec, s[20:21]
	v_readfirstlane_b32 s20, v2
	s_cmp_eq_u32 s20, 0
	s_cbranch_scc1 .LBB11_105
; %bb.104:                              ;   in Loop: Header=BB11_106 Depth=3
	s_sleep 1
	s_cbranch_execnz .LBB11_106
	s_branch .LBB11_108
.LBB11_105:                             ;   in Loop: Header=BB11_31 Depth=2
	s_branch .LBB11_108
.LBB11_106:                             ;   Parent Loop BB11_2 Depth=1
                                        ;     Parent Loop BB11_31 Depth=2
                                        ; =>    This Inner Loop Header: Depth=3
	v_mov_b32_e32 v2, 1
	s_and_saveexec_b64 s[20:21], s[0:1]
	s_cbranch_execz .LBB11_103
; %bb.107:                              ;   in Loop: Header=BB11_106 Depth=3
	global_load_dword v2, v[40:41], off offset:20 glc
	s_waitcnt vmcnt(0)
	buffer_invl2
	buffer_wbinvl1_vol
	v_and_b32_e32 v2, 1, v2
	s_branch .LBB11_103
.LBB11_108:                             ;   in Loop: Header=BB11_31 Depth=2
	global_load_dwordx4 v[16:19], v[4:5], off
	s_and_saveexec_b64 s[20:21], s[0:1]
	s_cbranch_execz .LBB11_30
; %bb.109:                              ;   in Loop: Header=BB11_31 Depth=2
	global_load_dwordx2 v[4:5], v3, s[6:7] offset:40
	global_load_dwordx2 v[22:23], v3, s[6:7] offset:24 glc
	global_load_dwordx2 v[24:25], v3, s[6:7]
	v_mov_b32_e32 v2, s19
	s_waitcnt vmcnt(2)
	v_add_co_u32_e32 v21, vcc, 1, v4
	v_addc_co_u32_e32 v26, vcc, 0, v5, vcc
	v_add_co_u32_e32 v18, vcc, s18, v21
	v_addc_co_u32_e32 v19, vcc, v26, v2, vcc
	v_cmp_eq_u64_e32 vcc, 0, v[18:19]
	v_cndmask_b32_e32 v19, v19, v26, vcc
	v_cndmask_b32_e32 v18, v18, v21, vcc
	v_and_b32_e32 v2, v19, v5
	v_and_b32_e32 v4, v18, v4
	v_mul_lo_u32 v2, v2, 24
	v_mul_hi_u32 v5, v4, 24
	v_mul_lo_u32 v4, v4, 24
	v_add_u32_e32 v2, v5, v2
	s_waitcnt vmcnt(0)
	v_add_co_u32_e32 v4, vcc, v24, v4
	v_addc_co_u32_e32 v5, vcc, v25, v2, vcc
	v_mov_b32_e32 v20, v22
	global_store_dwordx2 v[4:5], v[22:23], off
	v_mov_b32_e32 v21, v23
	buffer_wbl2
	s_waitcnt vmcnt(0)
	global_atomic_cmpswap_x2 v[20:21], v3, v[18:21], s[6:7] offset:24 glc
	s_waitcnt vmcnt(0)
	v_cmp_ne_u64_e32 vcc, v[20:21], v[22:23]
	s_and_b64 exec, exec, vcc
	s_cbranch_execz .LBB11_30
; %bb.110:                              ;   in Loop: Header=BB11_31 Depth=2
	s_mov_b64 s[0:1], 0
.LBB11_111:                             ;   Parent Loop BB11_2 Depth=1
                                        ;     Parent Loop BB11_31 Depth=2
                                        ; =>    This Inner Loop Header: Depth=3
	s_sleep 1
	global_store_dwordx2 v[4:5], v[20:21], off
	buffer_wbl2
	s_waitcnt vmcnt(0)
	global_atomic_cmpswap_x2 v[22:23], v3, v[18:21], s[6:7] offset:24 glc
	s_waitcnt vmcnt(0)
	v_cmp_eq_u64_e32 vcc, v[22:23], v[20:21]
	s_or_b64 s[0:1], vcc, s[0:1]
	v_pk_mov_b32 v[20:21], v[22:23], v[22:23] op_sel:[0,1]
	s_andn2_b64 exec, exec, s[0:1]
	s_cbranch_execnz .LBB11_111
	s_branch .LBB11_30
.LBB11_112:                             ;   in Loop: Header=BB11_2 Depth=1
	s_branch .LBB11_141
.LBB11_113:                             ;   in Loop: Header=BB11_2 Depth=1
                                        ; implicit-def: $vgpr16_vgpr17
	s_cbranch_execz .LBB11_141
; %bb.114:                              ;   in Loop: Header=BB11_2 Depth=1
	v_readfirstlane_b32 s0, v36
	v_cmp_eq_u32_e64 s[0:1], s0, v36
	v_pk_mov_b32 v[4:5], 0, 0
	s_and_saveexec_b64 s[12:13], s[0:1]
	s_cbranch_execz .LBB11_120
; %bb.115:                              ;   in Loop: Header=BB11_2 Depth=1
	global_load_dwordx2 v[18:19], v3, s[6:7] offset:24 glc
	s_waitcnt vmcnt(0)
	buffer_invl2
	buffer_wbinvl1_vol
	global_load_dwordx2 v[4:5], v3, s[6:7] offset:40
	global_load_dwordx2 v[16:17], v3, s[6:7]
	s_waitcnt vmcnt(1)
	v_and_b32_e32 v2, v4, v18
	v_and_b32_e32 v4, v5, v19
	v_mul_lo_u32 v4, v4, 24
	v_mul_hi_u32 v5, v2, 24
	v_mul_lo_u32 v2, v2, 24
	v_add_u32_e32 v5, v5, v4
	s_waitcnt vmcnt(0)
	v_add_co_u32_e32 v4, vcc, v16, v2
	v_addc_co_u32_e32 v5, vcc, v17, v5, vcc
	global_load_dwordx2 v[16:17], v[4:5], off glc
	s_waitcnt vmcnt(0)
	global_atomic_cmpswap_x2 v[4:5], v3, v[16:19], s[6:7] offset:24 glc
	s_waitcnt vmcnt(0)
	buffer_invl2
	buffer_wbinvl1_vol
	v_cmp_ne_u64_e32 vcc, v[4:5], v[18:19]
	s_and_saveexec_b64 s[14:15], vcc
	s_cbranch_execz .LBB11_119
; %bb.116:                              ;   in Loop: Header=BB11_2 Depth=1
	s_mov_b64 s[16:17], 0
.LBB11_117:                             ;   Parent Loop BB11_2 Depth=1
                                        ; =>  This Inner Loop Header: Depth=2
	s_sleep 1
	global_load_dwordx2 v[16:17], v3, s[6:7] offset:40
	global_load_dwordx2 v[20:21], v3, s[6:7]
	v_pk_mov_b32 v[18:19], v[4:5], v[4:5] op_sel:[0,1]
	s_waitcnt vmcnt(1)
	v_and_b32_e32 v2, v16, v18
	s_waitcnt vmcnt(0)
	v_mad_u64_u32 v[4:5], s[18:19], v2, 24, v[20:21]
	v_and_b32_e32 v17, v17, v19
	v_mov_b32_e32 v2, v5
	v_mad_u64_u32 v[16:17], s[18:19], v17, 24, v[2:3]
	v_mov_b32_e32 v5, v16
	global_load_dwordx2 v[16:17], v[4:5], off glc
	s_waitcnt vmcnt(0)
	global_atomic_cmpswap_x2 v[4:5], v3, v[16:19], s[6:7] offset:24 glc
	s_waitcnt vmcnt(0)
	buffer_invl2
	buffer_wbinvl1_vol
	v_cmp_eq_u64_e32 vcc, v[4:5], v[18:19]
	s_or_b64 s[16:17], vcc, s[16:17]
	s_andn2_b64 exec, exec, s[16:17]
	s_cbranch_execnz .LBB11_117
; %bb.118:                              ;   in Loop: Header=BB11_2 Depth=1
	s_or_b64 exec, exec, s[16:17]
.LBB11_119:                             ;   in Loop: Header=BB11_2 Depth=1
	s_or_b64 exec, exec, s[14:15]
.LBB11_120:                             ;   in Loop: Header=BB11_2 Depth=1
	s_or_b64 exec, exec, s[12:13]
	global_load_dwordx2 v[20:21], v3, s[6:7] offset:40
	global_load_dwordx4 v[16:19], v3, s[6:7]
	v_readfirstlane_b32 s12, v4
	v_readfirstlane_b32 s13, v5
	s_mov_b64 s[14:15], exec
	s_waitcnt vmcnt(1)
	v_readfirstlane_b32 s16, v20
	v_readfirstlane_b32 s17, v21
	s_and_b64 s[16:17], s[12:13], s[16:17]
	s_mul_i32 s18, s17, 24
	s_mul_hi_u32 s19, s16, 24
	s_mul_i32 s20, s16, 24
	s_add_i32 s18, s19, s18
	v_mov_b32_e32 v2, s18
	s_waitcnt vmcnt(0)
	v_add_co_u32_e32 v20, vcc, s20, v16
	v_addc_co_u32_e32 v21, vcc, v17, v2, vcc
	s_and_saveexec_b64 s[18:19], s[0:1]
	s_cbranch_execz .LBB11_122
; %bb.121:                              ;   in Loop: Header=BB11_2 Depth=1
	v_pk_mov_b32 v[4:5], s[14:15], s[14:15] op_sel:[0,1]
	global_store_dwordx4 v[20:21], v[4:7], off offset:8
.LBB11_122:                             ;   in Loop: Header=BB11_2 Depth=1
	s_or_b64 exec, exec, s[18:19]
	s_lshl_b64 s[14:15], s[16:17], 12
	v_mov_b32_e32 v2, s15
	v_add_co_u32_e32 v4, vcc, s14, v18
	v_addc_co_u32_e32 v5, vcc, v19, v2, vcc
	v_pk_mov_b32 v[24:25], s[10:11], s[10:11] op_sel:[0,1]
	v_and_or_b32 v0, v0, s27, 32
	v_mov_b32_e32 v2, v3
	v_readfirstlane_b32 s14, v4
	v_readfirstlane_b32 s15, v5
	v_pk_mov_b32 v[22:23], s[8:9], s[8:9] op_sel:[0,1]
	s_nop 3
	global_store_dwordx4 v37, v[0:3], s[14:15]
	global_store_dwordx4 v37, v[22:25], s[14:15] offset:16
	global_store_dwordx4 v37, v[22:25], s[14:15] offset:32
	;; [unrolled: 1-line block ×3, first 2 shown]
	s_and_saveexec_b64 s[14:15], s[0:1]
	s_cbranch_execz .LBB11_130
; %bb.123:                              ;   in Loop: Header=BB11_2 Depth=1
	global_load_dwordx2 v[24:25], v3, s[6:7] offset:32 glc
	global_load_dwordx2 v[0:1], v3, s[6:7] offset:40
	v_mov_b32_e32 v22, s12
	v_mov_b32_e32 v23, s13
	s_waitcnt vmcnt(0)
	v_readfirstlane_b32 s16, v0
	v_readfirstlane_b32 s17, v1
	s_and_b64 s[16:17], s[16:17], s[12:13]
	s_mul_i32 s17, s17, 24
	s_mul_hi_u32 s18, s16, 24
	s_mul_i32 s16, s16, 24
	s_add_i32 s17, s18, s17
	v_mov_b32_e32 v1, s17
	v_add_co_u32_e32 v0, vcc, s16, v16
	v_addc_co_u32_e32 v1, vcc, v17, v1, vcc
	global_store_dwordx2 v[0:1], v[24:25], off
	buffer_wbl2
	s_waitcnt vmcnt(0)
	global_atomic_cmpswap_x2 v[18:19], v3, v[22:25], s[6:7] offset:32 glc
	s_waitcnt vmcnt(0)
	v_cmp_ne_u64_e32 vcc, v[18:19], v[24:25]
	s_and_saveexec_b64 s[16:17], vcc
	s_cbranch_execz .LBB11_126
; %bb.124:                              ;   in Loop: Header=BB11_2 Depth=1
	s_mov_b64 s[18:19], 0
.LBB11_125:                             ;   Parent Loop BB11_2 Depth=1
                                        ; =>  This Inner Loop Header: Depth=2
	s_sleep 1
	global_store_dwordx2 v[0:1], v[18:19], off
	v_mov_b32_e32 v16, s12
	v_mov_b32_e32 v17, s13
	buffer_wbl2
	s_waitcnt vmcnt(0)
	global_atomic_cmpswap_x2 v[16:17], v3, v[16:19], s[6:7] offset:32 glc
	s_waitcnt vmcnt(0)
	v_cmp_eq_u64_e32 vcc, v[16:17], v[18:19]
	s_or_b64 s[18:19], vcc, s[18:19]
	v_pk_mov_b32 v[18:19], v[16:17], v[16:17] op_sel:[0,1]
	s_andn2_b64 exec, exec, s[18:19]
	s_cbranch_execnz .LBB11_125
.LBB11_126:                             ;   in Loop: Header=BB11_2 Depth=1
	s_or_b64 exec, exec, s[16:17]
	global_load_dwordx2 v[0:1], v3, s[6:7] offset:16
	s_mov_b64 s[18:19], exec
	v_mbcnt_lo_u32_b32 v2, s18, 0
	v_mbcnt_hi_u32_b32 v2, s19, v2
	v_cmp_eq_u32_e32 vcc, 0, v2
	s_and_saveexec_b64 s[16:17], vcc
	s_cbranch_execz .LBB11_128
; %bb.127:                              ;   in Loop: Header=BB11_2 Depth=1
	s_bcnt1_i32_b64 s18, s[18:19]
	v_mov_b32_e32 v2, s18
	buffer_wbl2
	s_waitcnt vmcnt(0)
	global_atomic_add_x2 v[0:1], v[2:3], off offset:8
.LBB11_128:                             ;   in Loop: Header=BB11_2 Depth=1
	s_or_b64 exec, exec, s[16:17]
	s_waitcnt vmcnt(0)
	global_load_dwordx2 v[16:17], v[0:1], off offset:16
	s_waitcnt vmcnt(0)
	v_cmp_eq_u64_e32 vcc, 0, v[16:17]
	s_cbranch_vccnz .LBB11_130
; %bb.129:                              ;   in Loop: Header=BB11_2 Depth=1
	global_load_dword v2, v[0:1], off offset:24
	s_waitcnt vmcnt(0)
	v_and_b32_e32 v0, 0xffffff, v2
	v_readfirstlane_b32 m0, v0
	buffer_wbl2
	global_store_dwordx2 v[16:17], v[2:3], off
	s_sendmsg sendmsg(MSG_INTERRUPT)
.LBB11_130:                             ;   in Loop: Header=BB11_2 Depth=1
	s_or_b64 exec, exec, s[14:15]
	v_add_co_u32_e32 v0, vcc, v4, v37
	v_addc_co_u32_e32 v1, vcc, 0, v5, vcc
	s_branch .LBB11_134
.LBB11_131:                             ;   in Loop: Header=BB11_134 Depth=2
	s_or_b64 exec, exec, s[14:15]
	v_readfirstlane_b32 s14, v2
	s_cmp_eq_u32 s14, 0
	s_cbranch_scc1 .LBB11_133
; %bb.132:                              ;   in Loop: Header=BB11_134 Depth=2
	s_sleep 1
	s_cbranch_execnz .LBB11_134
	s_branch .LBB11_136
.LBB11_133:                             ;   in Loop: Header=BB11_2 Depth=1
	s_branch .LBB11_136
.LBB11_134:                             ;   Parent Loop BB11_2 Depth=1
                                        ; =>  This Inner Loop Header: Depth=2
	v_mov_b32_e32 v2, 1
	s_and_saveexec_b64 s[14:15], s[0:1]
	s_cbranch_execz .LBB11_131
; %bb.135:                              ;   in Loop: Header=BB11_134 Depth=2
	global_load_dword v2, v[20:21], off offset:20 glc
	s_waitcnt vmcnt(0)
	buffer_invl2
	buffer_wbinvl1_vol
	v_and_b32_e32 v2, 1, v2
	s_branch .LBB11_131
.LBB11_136:                             ;   in Loop: Header=BB11_2 Depth=1
	global_load_dwordx2 v[16:17], v[0:1], off
	s_and_saveexec_b64 s[14:15], s[0:1]
	s_cbranch_execz .LBB11_140
; %bb.137:                              ;   in Loop: Header=BB11_2 Depth=1
	global_load_dwordx2 v[0:1], v3, s[6:7] offset:40
	global_load_dwordx2 v[4:5], v3, s[6:7] offset:24 glc
	global_load_dwordx2 v[22:23], v3, s[6:7]
	v_mov_b32_e32 v2, s13
	s_waitcnt vmcnt(2)
	v_add_co_u32_e32 v21, vcc, 1, v0
	v_addc_co_u32_e32 v24, vcc, 0, v1, vcc
	v_add_co_u32_e32 v18, vcc, s12, v21
	v_addc_co_u32_e32 v19, vcc, v24, v2, vcc
	v_cmp_eq_u64_e32 vcc, 0, v[18:19]
	v_cndmask_b32_e32 v19, v19, v24, vcc
	v_cndmask_b32_e32 v18, v18, v21, vcc
	v_and_b32_e32 v1, v19, v1
	v_and_b32_e32 v0, v18, v0
	v_mul_lo_u32 v1, v1, 24
	v_mul_hi_u32 v2, v0, 24
	v_mul_lo_u32 v0, v0, 24
	v_add_u32_e32 v1, v2, v1
	s_waitcnt vmcnt(0)
	v_add_co_u32_e32 v0, vcc, v22, v0
	v_addc_co_u32_e32 v1, vcc, v23, v1, vcc
	v_mov_b32_e32 v20, v4
	global_store_dwordx2 v[0:1], v[4:5], off
	v_mov_b32_e32 v21, v5
	buffer_wbl2
	s_waitcnt vmcnt(0)
	global_atomic_cmpswap_x2 v[20:21], v3, v[18:21], s[6:7] offset:24 glc
	s_waitcnt vmcnt(0)
	v_cmp_ne_u64_e32 vcc, v[20:21], v[4:5]
	s_and_b64 exec, exec, vcc
	s_cbranch_execz .LBB11_140
; %bb.138:                              ;   in Loop: Header=BB11_2 Depth=1
	s_mov_b64 s[0:1], 0
.LBB11_139:                             ;   Parent Loop BB11_2 Depth=1
                                        ; =>  This Inner Loop Header: Depth=2
	s_sleep 1
	global_store_dwordx2 v[0:1], v[20:21], off
	buffer_wbl2
	s_waitcnt vmcnt(0)
	global_atomic_cmpswap_x2 v[4:5], v3, v[18:21], s[6:7] offset:24 glc
	s_waitcnt vmcnt(0)
	v_cmp_eq_u64_e32 vcc, v[4:5], v[20:21]
	s_or_b64 s[0:1], vcc, s[0:1]
	v_pk_mov_b32 v[20:21], v[4:5], v[4:5] op_sel:[0,1]
	s_andn2_b64 exec, exec, s[0:1]
	s_cbranch_execnz .LBB11_139
.LBB11_140:                             ;   in Loop: Header=BB11_2 Depth=1
	s_or_b64 exec, exec, s[14:15]
.LBB11_141:                             ;   in Loop: Header=BB11_2 Depth=1
	v_readfirstlane_b32 s0, v36
	v_cmp_eq_u32_e64 s[0:1], s0, v36
	s_waitcnt vmcnt(0)
	v_pk_mov_b32 v[0:1], 0, 0
	s_and_saveexec_b64 s[12:13], s[0:1]
	s_cbranch_execz .LBB11_147
; %bb.142:                              ;   in Loop: Header=BB11_2 Depth=1
	global_load_dwordx2 v[20:21], v3, s[6:7] offset:24 glc
	s_waitcnt vmcnt(0)
	buffer_invl2
	buffer_wbinvl1_vol
	global_load_dwordx2 v[0:1], v3, s[6:7] offset:40
	global_load_dwordx2 v[4:5], v3, s[6:7]
	s_waitcnt vmcnt(1)
	v_and_b32_e32 v0, v0, v20
	v_and_b32_e32 v1, v1, v21
	v_mul_lo_u32 v1, v1, 24
	v_mul_hi_u32 v2, v0, 24
	v_mul_lo_u32 v0, v0, 24
	v_add_u32_e32 v1, v2, v1
	s_waitcnt vmcnt(0)
	v_add_co_u32_e32 v0, vcc, v4, v0
	v_addc_co_u32_e32 v1, vcc, v5, v1, vcc
	global_load_dwordx2 v[18:19], v[0:1], off glc
	s_waitcnt vmcnt(0)
	global_atomic_cmpswap_x2 v[0:1], v3, v[18:21], s[6:7] offset:24 glc
	s_waitcnt vmcnt(0)
	buffer_invl2
	buffer_wbinvl1_vol
	v_cmp_ne_u64_e32 vcc, v[0:1], v[20:21]
	s_and_saveexec_b64 s[14:15], vcc
	s_cbranch_execz .LBB11_146
; %bb.143:                              ;   in Loop: Header=BB11_2 Depth=1
	s_mov_b64 s[16:17], 0
.LBB11_144:                             ;   Parent Loop BB11_2 Depth=1
                                        ; =>  This Inner Loop Header: Depth=2
	s_sleep 1
	global_load_dwordx2 v[4:5], v3, s[6:7] offset:40
	global_load_dwordx2 v[18:19], v3, s[6:7]
	v_pk_mov_b32 v[20:21], v[0:1], v[0:1] op_sel:[0,1]
	s_waitcnt vmcnt(1)
	v_and_b32_e32 v0, v4, v20
	s_waitcnt vmcnt(0)
	v_mad_u64_u32 v[0:1], s[18:19], v0, 24, v[18:19]
	v_and_b32_e32 v5, v5, v21
	v_mov_b32_e32 v2, v1
	v_mad_u64_u32 v[4:5], s[18:19], v5, 24, v[2:3]
	v_mov_b32_e32 v1, v4
	global_load_dwordx2 v[18:19], v[0:1], off glc
	s_waitcnt vmcnt(0)
	global_atomic_cmpswap_x2 v[0:1], v3, v[18:21], s[6:7] offset:24 glc
	s_waitcnt vmcnt(0)
	buffer_invl2
	buffer_wbinvl1_vol
	v_cmp_eq_u64_e32 vcc, v[0:1], v[20:21]
	s_or_b64 s[16:17], vcc, s[16:17]
	s_andn2_b64 exec, exec, s[16:17]
	s_cbranch_execnz .LBB11_144
; %bb.145:                              ;   in Loop: Header=BB11_2 Depth=1
	s_or_b64 exec, exec, s[16:17]
.LBB11_146:                             ;   in Loop: Header=BB11_2 Depth=1
	s_or_b64 exec, exec, s[14:15]
.LBB11_147:                             ;   in Loop: Header=BB11_2 Depth=1
	s_or_b64 exec, exec, s[12:13]
	global_load_dwordx2 v[4:5], v3, s[6:7] offset:40
	global_load_dwordx4 v[20:23], v3, s[6:7]
	v_readfirstlane_b32 s12, v0
	v_readfirstlane_b32 s13, v1
	s_mov_b64 s[14:15], exec
	s_waitcnt vmcnt(1)
	v_readfirstlane_b32 s16, v4
	v_readfirstlane_b32 s17, v5
	s_and_b64 s[16:17], s[12:13], s[16:17]
	s_mul_i32 s18, s17, 24
	s_mul_hi_u32 s19, s16, 24
	s_mul_i32 s20, s16, 24
	s_add_i32 s18, s19, s18
	v_mov_b32_e32 v1, s18
	s_waitcnt vmcnt(0)
	v_add_co_u32_e32 v0, vcc, s20, v20
	v_addc_co_u32_e32 v1, vcc, v21, v1, vcc
	s_and_saveexec_b64 s[18:19], s[0:1]
	s_cbranch_execz .LBB11_149
; %bb.148:                              ;   in Loop: Header=BB11_2 Depth=1
	v_pk_mov_b32 v[4:5], s[14:15], s[14:15] op_sel:[0,1]
	global_store_dwordx4 v[0:1], v[4:7], off offset:8
.LBB11_149:                             ;   in Loop: Header=BB11_2 Depth=1
	s_or_b64 exec, exec, s[18:19]
	s_lshl_b64 s[14:15], s[16:17], 12
	v_mov_b32_e32 v2, s15
	v_add_co_u32_e32 v4, vcc, s14, v22
	v_addc_co_u32_e32 v5, vcc, v23, v2, vcc
	v_and_or_b32 v16, v16, s27, 32
	v_mov_b32_e32 v18, s29
	v_mov_b32_e32 v19, v3
	v_readfirstlane_b32 s14, v4
	v_readfirstlane_b32 s15, v5
	s_nop 4
	global_store_dwordx4 v37, v[16:19], s[14:15]
	s_nop 0
	v_pk_mov_b32 v[18:19], s[10:11], s[10:11] op_sel:[0,1]
	v_pk_mov_b32 v[16:17], s[8:9], s[8:9] op_sel:[0,1]
	global_store_dwordx4 v37, v[16:19], s[14:15] offset:16
	global_store_dwordx4 v37, v[16:19], s[14:15] offset:32
	;; [unrolled: 1-line block ×3, first 2 shown]
	s_and_saveexec_b64 s[14:15], s[0:1]
	s_cbranch_execz .LBB11_157
; %bb.150:                              ;   in Loop: Header=BB11_2 Depth=1
	global_load_dwordx2 v[24:25], v3, s[6:7] offset:32 glc
	global_load_dwordx2 v[16:17], v3, s[6:7] offset:40
	v_mov_b32_e32 v22, s12
	v_mov_b32_e32 v23, s13
	s_waitcnt vmcnt(0)
	v_readfirstlane_b32 s16, v16
	v_readfirstlane_b32 s17, v17
	s_and_b64 s[16:17], s[16:17], s[12:13]
	s_mul_i32 s17, s17, 24
	s_mul_hi_u32 s18, s16, 24
	s_mul_i32 s16, s16, 24
	s_add_i32 s17, s18, s17
	v_mov_b32_e32 v2, s17
	v_add_co_u32_e32 v20, vcc, s16, v20
	v_addc_co_u32_e32 v21, vcc, v21, v2, vcc
	global_store_dwordx2 v[20:21], v[24:25], off
	buffer_wbl2
	s_waitcnt vmcnt(0)
	global_atomic_cmpswap_x2 v[18:19], v3, v[22:25], s[6:7] offset:32 glc
	s_waitcnt vmcnt(0)
	v_cmp_ne_u64_e32 vcc, v[18:19], v[24:25]
	s_and_saveexec_b64 s[16:17], vcc
	s_cbranch_execz .LBB11_153
; %bb.151:                              ;   in Loop: Header=BB11_2 Depth=1
	s_mov_b64 s[18:19], 0
.LBB11_152:                             ;   Parent Loop BB11_2 Depth=1
                                        ; =>  This Inner Loop Header: Depth=2
	s_sleep 1
	global_store_dwordx2 v[20:21], v[18:19], off
	v_mov_b32_e32 v16, s12
	v_mov_b32_e32 v17, s13
	buffer_wbl2
	s_waitcnt vmcnt(0)
	global_atomic_cmpswap_x2 v[16:17], v3, v[16:19], s[6:7] offset:32 glc
	s_waitcnt vmcnt(0)
	v_cmp_eq_u64_e32 vcc, v[16:17], v[18:19]
	s_or_b64 s[18:19], vcc, s[18:19]
	v_pk_mov_b32 v[18:19], v[16:17], v[16:17] op_sel:[0,1]
	s_andn2_b64 exec, exec, s[18:19]
	s_cbranch_execnz .LBB11_152
.LBB11_153:                             ;   in Loop: Header=BB11_2 Depth=1
	s_or_b64 exec, exec, s[16:17]
	global_load_dwordx2 v[16:17], v3, s[6:7] offset:16
	s_mov_b64 s[18:19], exec
	v_mbcnt_lo_u32_b32 v2, s18, 0
	v_mbcnt_hi_u32_b32 v2, s19, v2
	v_cmp_eq_u32_e32 vcc, 0, v2
	s_and_saveexec_b64 s[16:17], vcc
	s_cbranch_execz .LBB11_155
; %bb.154:                              ;   in Loop: Header=BB11_2 Depth=1
	s_bcnt1_i32_b64 s18, s[18:19]
	v_mov_b32_e32 v2, s18
	buffer_wbl2
	s_waitcnt vmcnt(0)
	global_atomic_add_x2 v[16:17], v[2:3], off offset:8
.LBB11_155:                             ;   in Loop: Header=BB11_2 Depth=1
	s_or_b64 exec, exec, s[16:17]
	s_waitcnt vmcnt(0)
	global_load_dwordx2 v[18:19], v[16:17], off offset:16
	s_waitcnt vmcnt(0)
	v_cmp_eq_u64_e32 vcc, 0, v[18:19]
	s_cbranch_vccnz .LBB11_157
; %bb.156:                              ;   in Loop: Header=BB11_2 Depth=1
	global_load_dword v2, v[16:17], off offset:24
	buffer_wbl2
	s_waitcnt vmcnt(0)
	global_store_dwordx2 v[18:19], v[2:3], off
	v_and_b32_e32 v2, 0xffffff, v2
	v_readfirstlane_b32 m0, v2
	s_sendmsg sendmsg(MSG_INTERRUPT)
.LBB11_157:                             ;   in Loop: Header=BB11_2 Depth=1
	s_or_b64 exec, exec, s[14:15]
	v_add_co_u32_e32 v4, vcc, v4, v37
	v_addc_co_u32_e32 v5, vcc, 0, v5, vcc
	s_branch .LBB11_161
.LBB11_158:                             ;   in Loop: Header=BB11_161 Depth=2
	s_or_b64 exec, exec, s[14:15]
	v_readfirstlane_b32 s14, v2
	s_cmp_eq_u32 s14, 0
	s_cbranch_scc1 .LBB11_160
; %bb.159:                              ;   in Loop: Header=BB11_161 Depth=2
	s_sleep 1
	s_cbranch_execnz .LBB11_161
	s_branch .LBB11_163
.LBB11_160:                             ;   in Loop: Header=BB11_2 Depth=1
	s_branch .LBB11_163
.LBB11_161:                             ;   Parent Loop BB11_2 Depth=1
                                        ; =>  This Inner Loop Header: Depth=2
	v_mov_b32_e32 v2, 1
	s_and_saveexec_b64 s[14:15], s[0:1]
	s_cbranch_execz .LBB11_158
; %bb.162:                              ;   in Loop: Header=BB11_161 Depth=2
	global_load_dword v2, v[0:1], off offset:20 glc
	s_waitcnt vmcnt(0)
	buffer_invl2
	buffer_wbinvl1_vol
	v_and_b32_e32 v2, 1, v2
	s_branch .LBB11_158
.LBB11_163:                             ;   in Loop: Header=BB11_2 Depth=1
	global_load_dwordx2 v[0:1], v[4:5], off
	s_and_saveexec_b64 s[14:15], s[0:1]
	s_cbranch_execz .LBB11_167
; %bb.164:                              ;   in Loop: Header=BB11_2 Depth=1
	global_load_dwordx2 v[4:5], v3, s[6:7] offset:40
	global_load_dwordx2 v[20:21], v3, s[6:7] offset:24 glc
	global_load_dwordx2 v[22:23], v3, s[6:7]
	v_mov_b32_e32 v2, s13
	s_waitcnt vmcnt(2)
	v_add_co_u32_e32 v19, vcc, 1, v4
	v_addc_co_u32_e32 v24, vcc, 0, v5, vcc
	v_add_co_u32_e32 v16, vcc, s12, v19
	v_addc_co_u32_e32 v17, vcc, v24, v2, vcc
	v_cmp_eq_u64_e32 vcc, 0, v[16:17]
	v_cndmask_b32_e32 v17, v17, v24, vcc
	v_cndmask_b32_e32 v16, v16, v19, vcc
	v_and_b32_e32 v2, v17, v5
	v_and_b32_e32 v4, v16, v4
	v_mul_lo_u32 v2, v2, 24
	v_mul_hi_u32 v5, v4, 24
	v_mul_lo_u32 v4, v4, 24
	v_add_u32_e32 v2, v5, v2
	s_waitcnt vmcnt(0)
	v_add_co_u32_e32 v4, vcc, v22, v4
	v_addc_co_u32_e32 v5, vcc, v23, v2, vcc
	v_mov_b32_e32 v18, v20
	global_store_dwordx2 v[4:5], v[20:21], off
	v_mov_b32_e32 v19, v21
	buffer_wbl2
	s_waitcnt vmcnt(0)
	global_atomic_cmpswap_x2 v[18:19], v3, v[16:19], s[6:7] offset:24 glc
	s_waitcnt vmcnt(0)
	v_cmp_ne_u64_e32 vcc, v[18:19], v[20:21]
	s_and_b64 exec, exec, vcc
	s_cbranch_execz .LBB11_167
; %bb.165:                              ;   in Loop: Header=BB11_2 Depth=1
	s_mov_b64 s[0:1], 0
.LBB11_166:                             ;   Parent Loop BB11_2 Depth=1
                                        ; =>  This Inner Loop Header: Depth=2
	s_sleep 1
	global_store_dwordx2 v[4:5], v[18:19], off
	buffer_wbl2
	s_waitcnt vmcnt(0)
	global_atomic_cmpswap_x2 v[20:21], v3, v[16:19], s[6:7] offset:24 glc
	s_waitcnt vmcnt(0)
	v_cmp_eq_u64_e32 vcc, v[20:21], v[18:19]
	s_or_b64 s[0:1], vcc, s[0:1]
	v_pk_mov_b32 v[18:19], v[20:21], v[20:21] op_sel:[0,1]
	s_andn2_b64 exec, exec, s[0:1]
	s_cbranch_execnz .LBB11_166
.LBB11_167:                             ;   in Loop: Header=BB11_2 Depth=1
	s_or_b64 exec, exec, s[14:15]
	v_readfirstlane_b32 s0, v36
	v_cmp_eq_u32_e64 s[0:1], s0, v36
	v_pk_mov_b32 v[4:5], 0, 0
	s_and_saveexec_b64 s[12:13], s[0:1]
	s_cbranch_execz .LBB11_173
; %bb.168:                              ;   in Loop: Header=BB11_2 Depth=1
	global_load_dwordx2 v[18:19], v3, s[6:7] offset:24 glc
	s_waitcnt vmcnt(0)
	buffer_invl2
	buffer_wbinvl1_vol
	global_load_dwordx2 v[4:5], v3, s[6:7] offset:40
	global_load_dwordx2 v[16:17], v3, s[6:7]
	s_waitcnt vmcnt(1)
	v_and_b32_e32 v2, v4, v18
	v_and_b32_e32 v4, v5, v19
	v_mul_lo_u32 v4, v4, 24
	v_mul_hi_u32 v5, v2, 24
	v_mul_lo_u32 v2, v2, 24
	v_add_u32_e32 v5, v5, v4
	s_waitcnt vmcnt(0)
	v_add_co_u32_e32 v4, vcc, v16, v2
	v_addc_co_u32_e32 v5, vcc, v17, v5, vcc
	global_load_dwordx2 v[16:17], v[4:5], off glc
	s_waitcnt vmcnt(0)
	global_atomic_cmpswap_x2 v[4:5], v3, v[16:19], s[6:7] offset:24 glc
	s_waitcnt vmcnt(0)
	buffer_invl2
	buffer_wbinvl1_vol
	v_cmp_ne_u64_e32 vcc, v[4:5], v[18:19]
	s_and_saveexec_b64 s[14:15], vcc
	s_cbranch_execz .LBB11_172
; %bb.169:                              ;   in Loop: Header=BB11_2 Depth=1
	s_mov_b64 s[16:17], 0
.LBB11_170:                             ;   Parent Loop BB11_2 Depth=1
                                        ; =>  This Inner Loop Header: Depth=2
	s_sleep 1
	global_load_dwordx2 v[16:17], v3, s[6:7] offset:40
	global_load_dwordx2 v[20:21], v3, s[6:7]
	v_pk_mov_b32 v[18:19], v[4:5], v[4:5] op_sel:[0,1]
	s_waitcnt vmcnt(1)
	v_and_b32_e32 v2, v16, v18
	s_waitcnt vmcnt(0)
	v_mad_u64_u32 v[4:5], s[18:19], v2, 24, v[20:21]
	v_and_b32_e32 v17, v17, v19
	v_mov_b32_e32 v2, v5
	v_mad_u64_u32 v[16:17], s[18:19], v17, 24, v[2:3]
	v_mov_b32_e32 v5, v16
	global_load_dwordx2 v[16:17], v[4:5], off glc
	s_waitcnt vmcnt(0)
	global_atomic_cmpswap_x2 v[4:5], v3, v[16:19], s[6:7] offset:24 glc
	s_waitcnt vmcnt(0)
	buffer_invl2
	buffer_wbinvl1_vol
	v_cmp_eq_u64_e32 vcc, v[4:5], v[18:19]
	s_or_b64 s[16:17], vcc, s[16:17]
	s_andn2_b64 exec, exec, s[16:17]
	s_cbranch_execnz .LBB11_170
; %bb.171:                              ;   in Loop: Header=BB11_2 Depth=1
	s_or_b64 exec, exec, s[16:17]
.LBB11_172:                             ;   in Loop: Header=BB11_2 Depth=1
	s_or_b64 exec, exec, s[14:15]
.LBB11_173:                             ;   in Loop: Header=BB11_2 Depth=1
	s_or_b64 exec, exec, s[12:13]
	global_load_dwordx2 v[20:21], v3, s[6:7] offset:40
	global_load_dwordx4 v[16:19], v3, s[6:7]
	v_readfirstlane_b32 s12, v4
	v_readfirstlane_b32 s13, v5
	s_mov_b64 s[14:15], exec
	s_waitcnt vmcnt(1)
	v_readfirstlane_b32 s16, v20
	v_readfirstlane_b32 s17, v21
	s_and_b64 s[16:17], s[12:13], s[16:17]
	s_mul_i32 s18, s17, 24
	s_mul_hi_u32 s19, s16, 24
	s_mul_i32 s20, s16, 24
	s_add_i32 s18, s19, s18
	v_mov_b32_e32 v2, s18
	s_waitcnt vmcnt(0)
	v_add_co_u32_e32 v20, vcc, s20, v16
	v_addc_co_u32_e32 v21, vcc, v17, v2, vcc
	s_and_saveexec_b64 s[18:19], s[0:1]
	s_cbranch_execz .LBB11_175
; %bb.174:                              ;   in Loop: Header=BB11_2 Depth=1
	v_pk_mov_b32 v[4:5], s[14:15], s[14:15] op_sel:[0,1]
	global_store_dwordx4 v[20:21], v[4:7], off offset:8
.LBB11_175:                             ;   in Loop: Header=BB11_2 Depth=1
	s_or_b64 exec, exec, s[18:19]
	s_lshl_b64 s[14:15], s[16:17], 12
	v_mov_b32_e32 v2, s15
	v_add_co_u32_e32 v4, vcc, s14, v18
	v_addc_co_u32_e32 v5, vcc, v19, v2, vcc
	v_pk_mov_b32 v[24:25], s[10:11], s[10:11] op_sel:[0,1]
	v_and_b32_e32 v2, 0xffff, v39
	v_and_or_b32 v0, v0, s27, 32
	v_readfirstlane_b32 s14, v4
	v_readfirstlane_b32 s15, v5
	v_pk_mov_b32 v[22:23], s[8:9], s[8:9] op_sel:[0,1]
	s_nop 3
	global_store_dwordx4 v37, v[0:3], s[14:15]
	global_store_dwordx4 v37, v[22:25], s[14:15] offset:16
	global_store_dwordx4 v37, v[22:25], s[14:15] offset:32
	;; [unrolled: 1-line block ×3, first 2 shown]
	s_and_saveexec_b64 s[14:15], s[0:1]
	s_cbranch_execz .LBB11_183
; %bb.176:                              ;   in Loop: Header=BB11_2 Depth=1
	global_load_dwordx2 v[24:25], v3, s[6:7] offset:32 glc
	global_load_dwordx2 v[0:1], v3, s[6:7] offset:40
	v_mov_b32_e32 v22, s12
	v_mov_b32_e32 v23, s13
	s_waitcnt vmcnt(0)
	v_readfirstlane_b32 s16, v0
	v_readfirstlane_b32 s17, v1
	s_and_b64 s[16:17], s[16:17], s[12:13]
	s_mul_i32 s17, s17, 24
	s_mul_hi_u32 s18, s16, 24
	s_mul_i32 s16, s16, 24
	s_add_i32 s17, s18, s17
	v_mov_b32_e32 v1, s17
	v_add_co_u32_e32 v0, vcc, s16, v16
	v_addc_co_u32_e32 v1, vcc, v17, v1, vcc
	global_store_dwordx2 v[0:1], v[24:25], off
	buffer_wbl2
	s_waitcnt vmcnt(0)
	global_atomic_cmpswap_x2 v[18:19], v3, v[22:25], s[6:7] offset:32 glc
	s_waitcnt vmcnt(0)
	v_cmp_ne_u64_e32 vcc, v[18:19], v[24:25]
	s_and_saveexec_b64 s[16:17], vcc
	s_cbranch_execz .LBB11_179
; %bb.177:                              ;   in Loop: Header=BB11_2 Depth=1
	s_mov_b64 s[18:19], 0
.LBB11_178:                             ;   Parent Loop BB11_2 Depth=1
                                        ; =>  This Inner Loop Header: Depth=2
	s_sleep 1
	global_store_dwordx2 v[0:1], v[18:19], off
	v_mov_b32_e32 v16, s12
	v_mov_b32_e32 v17, s13
	buffer_wbl2
	s_waitcnt vmcnt(0)
	global_atomic_cmpswap_x2 v[16:17], v3, v[16:19], s[6:7] offset:32 glc
	s_waitcnt vmcnt(0)
	v_cmp_eq_u64_e32 vcc, v[16:17], v[18:19]
	s_or_b64 s[18:19], vcc, s[18:19]
	v_pk_mov_b32 v[18:19], v[16:17], v[16:17] op_sel:[0,1]
	s_andn2_b64 exec, exec, s[18:19]
	s_cbranch_execnz .LBB11_178
.LBB11_179:                             ;   in Loop: Header=BB11_2 Depth=1
	s_or_b64 exec, exec, s[16:17]
	global_load_dwordx2 v[0:1], v3, s[6:7] offset:16
	s_mov_b64 s[18:19], exec
	v_mbcnt_lo_u32_b32 v2, s18, 0
	v_mbcnt_hi_u32_b32 v2, s19, v2
	v_cmp_eq_u32_e32 vcc, 0, v2
	s_and_saveexec_b64 s[16:17], vcc
	s_cbranch_execz .LBB11_181
; %bb.180:                              ;   in Loop: Header=BB11_2 Depth=1
	s_bcnt1_i32_b64 s18, s[18:19]
	v_mov_b32_e32 v2, s18
	buffer_wbl2
	s_waitcnt vmcnt(0)
	global_atomic_add_x2 v[0:1], v[2:3], off offset:8
.LBB11_181:                             ;   in Loop: Header=BB11_2 Depth=1
	s_or_b64 exec, exec, s[16:17]
	s_waitcnt vmcnt(0)
	global_load_dwordx2 v[16:17], v[0:1], off offset:16
	s_waitcnt vmcnt(0)
	v_cmp_eq_u64_e32 vcc, 0, v[16:17]
	s_cbranch_vccnz .LBB11_183
; %bb.182:                              ;   in Loop: Header=BB11_2 Depth=1
	global_load_dword v2, v[0:1], off offset:24
	s_waitcnt vmcnt(0)
	v_and_b32_e32 v0, 0xffffff, v2
	v_readfirstlane_b32 m0, v0
	buffer_wbl2
	global_store_dwordx2 v[16:17], v[2:3], off
	s_sendmsg sendmsg(MSG_INTERRUPT)
.LBB11_183:                             ;   in Loop: Header=BB11_2 Depth=1
	s_or_b64 exec, exec, s[14:15]
	v_add_co_u32_e32 v0, vcc, v4, v37
	v_addc_co_u32_e32 v1, vcc, 0, v5, vcc
	s_branch .LBB11_187
.LBB11_184:                             ;   in Loop: Header=BB11_187 Depth=2
	s_or_b64 exec, exec, s[14:15]
	v_readfirstlane_b32 s14, v2
	s_cmp_eq_u32 s14, 0
	s_cbranch_scc1 .LBB11_186
; %bb.185:                              ;   in Loop: Header=BB11_187 Depth=2
	s_sleep 1
	s_cbranch_execnz .LBB11_187
	s_branch .LBB11_189
.LBB11_186:                             ;   in Loop: Header=BB11_2 Depth=1
	s_branch .LBB11_189
.LBB11_187:                             ;   Parent Loop BB11_2 Depth=1
                                        ; =>  This Inner Loop Header: Depth=2
	v_mov_b32_e32 v2, 1
	s_and_saveexec_b64 s[14:15], s[0:1]
	s_cbranch_execz .LBB11_184
; %bb.188:                              ;   in Loop: Header=BB11_187 Depth=2
	global_load_dword v2, v[20:21], off offset:20 glc
	s_waitcnt vmcnt(0)
	buffer_invl2
	buffer_wbinvl1_vol
	v_and_b32_e32 v2, 1, v2
	s_branch .LBB11_184
.LBB11_189:                             ;   in Loop: Header=BB11_2 Depth=1
	global_load_dwordx2 v[0:1], v[0:1], off
	s_and_saveexec_b64 s[14:15], s[0:1]
	s_cbranch_execz .LBB11_193
; %bb.190:                              ;   in Loop: Header=BB11_2 Depth=1
	global_load_dwordx2 v[4:5], v3, s[6:7] offset:40
	global_load_dwordx2 v[20:21], v3, s[6:7] offset:24 glc
	global_load_dwordx2 v[22:23], v3, s[6:7]
	v_mov_b32_e32 v2, s13
	s_waitcnt vmcnt(2)
	v_add_co_u32_e32 v19, vcc, 1, v4
	v_addc_co_u32_e32 v24, vcc, 0, v5, vcc
	v_add_co_u32_e32 v16, vcc, s12, v19
	v_addc_co_u32_e32 v17, vcc, v24, v2, vcc
	v_cmp_eq_u64_e32 vcc, 0, v[16:17]
	v_cndmask_b32_e32 v17, v17, v24, vcc
	v_cndmask_b32_e32 v16, v16, v19, vcc
	v_and_b32_e32 v2, v17, v5
	v_and_b32_e32 v4, v16, v4
	v_mul_lo_u32 v2, v2, 24
	v_mul_hi_u32 v5, v4, 24
	v_mul_lo_u32 v4, v4, 24
	v_add_u32_e32 v2, v5, v2
	s_waitcnt vmcnt(0)
	v_add_co_u32_e32 v4, vcc, v22, v4
	v_addc_co_u32_e32 v5, vcc, v23, v2, vcc
	v_mov_b32_e32 v18, v20
	global_store_dwordx2 v[4:5], v[20:21], off
	v_mov_b32_e32 v19, v21
	buffer_wbl2
	s_waitcnt vmcnt(0)
	global_atomic_cmpswap_x2 v[18:19], v3, v[16:19], s[6:7] offset:24 glc
	s_waitcnt vmcnt(0)
	v_cmp_ne_u64_e32 vcc, v[18:19], v[20:21]
	s_and_b64 exec, exec, vcc
	s_cbranch_execz .LBB11_193
; %bb.191:                              ;   in Loop: Header=BB11_2 Depth=1
	s_mov_b64 s[0:1], 0
.LBB11_192:                             ;   Parent Loop BB11_2 Depth=1
                                        ; =>  This Inner Loop Header: Depth=2
	s_sleep 1
	global_store_dwordx2 v[4:5], v[18:19], off
	buffer_wbl2
	s_waitcnt vmcnt(0)
	global_atomic_cmpswap_x2 v[20:21], v3, v[16:19], s[6:7] offset:24 glc
	s_waitcnt vmcnt(0)
	v_cmp_eq_u64_e32 vcc, v[20:21], v[18:19]
	s_or_b64 s[0:1], vcc, s[0:1]
	v_pk_mov_b32 v[18:19], v[20:21], v[20:21] op_sel:[0,1]
	s_andn2_b64 exec, exec, s[0:1]
	s_cbranch_execnz .LBB11_192
.LBB11_193:                             ;   in Loop: Header=BB11_2 Depth=1
	s_or_b64 exec, exec, s[14:15]
	v_readfirstlane_b32 s0, v36
	v_cmp_eq_u32_e64 s[0:1], s0, v36
	v_pk_mov_b32 v[4:5], 0, 0
	s_and_saveexec_b64 s[12:13], s[0:1]
	s_cbranch_execz .LBB11_199
; %bb.194:                              ;   in Loop: Header=BB11_2 Depth=1
	global_load_dwordx2 v[18:19], v3, s[6:7] offset:24 glc
	s_waitcnt vmcnt(0)
	buffer_invl2
	buffer_wbinvl1_vol
	global_load_dwordx2 v[4:5], v3, s[6:7] offset:40
	global_load_dwordx2 v[16:17], v3, s[6:7]
	s_waitcnt vmcnt(1)
	v_and_b32_e32 v2, v4, v18
	v_and_b32_e32 v4, v5, v19
	v_mul_lo_u32 v4, v4, 24
	v_mul_hi_u32 v5, v2, 24
	v_mul_lo_u32 v2, v2, 24
	v_add_u32_e32 v5, v5, v4
	s_waitcnt vmcnt(0)
	v_add_co_u32_e32 v4, vcc, v16, v2
	v_addc_co_u32_e32 v5, vcc, v17, v5, vcc
	global_load_dwordx2 v[16:17], v[4:5], off glc
	s_waitcnt vmcnt(0)
	global_atomic_cmpswap_x2 v[4:5], v3, v[16:19], s[6:7] offset:24 glc
	s_waitcnt vmcnt(0)
	buffer_invl2
	buffer_wbinvl1_vol
	v_cmp_ne_u64_e32 vcc, v[4:5], v[18:19]
	s_and_saveexec_b64 s[14:15], vcc
	s_cbranch_execz .LBB11_198
; %bb.195:                              ;   in Loop: Header=BB11_2 Depth=1
	s_mov_b64 s[16:17], 0
.LBB11_196:                             ;   Parent Loop BB11_2 Depth=1
                                        ; =>  This Inner Loop Header: Depth=2
	s_sleep 1
	global_load_dwordx2 v[16:17], v3, s[6:7] offset:40
	global_load_dwordx2 v[20:21], v3, s[6:7]
	v_pk_mov_b32 v[18:19], v[4:5], v[4:5] op_sel:[0,1]
	s_waitcnt vmcnt(1)
	v_and_b32_e32 v2, v16, v18
	s_waitcnt vmcnt(0)
	v_mad_u64_u32 v[4:5], s[18:19], v2, 24, v[20:21]
	v_and_b32_e32 v17, v17, v19
	v_mov_b32_e32 v2, v5
	v_mad_u64_u32 v[16:17], s[18:19], v17, 24, v[2:3]
	v_mov_b32_e32 v5, v16
	global_load_dwordx2 v[16:17], v[4:5], off glc
	s_waitcnt vmcnt(0)
	global_atomic_cmpswap_x2 v[4:5], v3, v[16:19], s[6:7] offset:24 glc
	s_waitcnt vmcnt(0)
	buffer_invl2
	buffer_wbinvl1_vol
	v_cmp_eq_u64_e32 vcc, v[4:5], v[18:19]
	s_or_b64 s[16:17], vcc, s[16:17]
	s_andn2_b64 exec, exec, s[16:17]
	s_cbranch_execnz .LBB11_196
; %bb.197:                              ;   in Loop: Header=BB11_2 Depth=1
	s_or_b64 exec, exec, s[16:17]
.LBB11_198:                             ;   in Loop: Header=BB11_2 Depth=1
	s_or_b64 exec, exec, s[14:15]
.LBB11_199:                             ;   in Loop: Header=BB11_2 Depth=1
	s_or_b64 exec, exec, s[12:13]
	global_load_dwordx2 v[20:21], v3, s[6:7] offset:40
	global_load_dwordx4 v[16:19], v3, s[6:7]
	v_readfirstlane_b32 s12, v4
	v_readfirstlane_b32 s13, v5
	s_mov_b64 s[14:15], exec
	s_waitcnt vmcnt(1)
	v_readfirstlane_b32 s16, v20
	v_readfirstlane_b32 s17, v21
	s_and_b64 s[16:17], s[12:13], s[16:17]
	s_mul_i32 s18, s17, 24
	s_mul_hi_u32 s19, s16, 24
	s_mul_i32 s20, s16, 24
	s_add_i32 s18, s19, s18
	v_mov_b32_e32 v2, s18
	s_waitcnt vmcnt(0)
	v_add_co_u32_e32 v20, vcc, s20, v16
	v_addc_co_u32_e32 v21, vcc, v17, v2, vcc
	s_and_saveexec_b64 s[18:19], s[0:1]
	s_cbranch_execz .LBB11_201
; %bb.200:                              ;   in Loop: Header=BB11_2 Depth=1
	v_pk_mov_b32 v[4:5], s[14:15], s[14:15] op_sel:[0,1]
	global_store_dwordx4 v[20:21], v[4:7], off offset:8
.LBB11_201:                             ;   in Loop: Header=BB11_2 Depth=1
	s_or_b64 exec, exec, s[18:19]
	s_lshl_b64 s[14:15], s[16:17], 12
	v_mov_b32_e32 v2, s15
	v_add_co_u32_e32 v4, vcc, s14, v18
	v_addc_co_u32_e32 v5, vcc, v19, v2, vcc
	v_pk_mov_b32 v[24:25], s[10:11], s[10:11] op_sel:[0,1]
	v_and_b32_e32 v2, 0xff, v42
	v_and_or_b32 v0, v0, s27, 32
	v_readfirstlane_b32 s14, v4
	v_readfirstlane_b32 s15, v5
	v_pk_mov_b32 v[22:23], s[8:9], s[8:9] op_sel:[0,1]
	s_nop 3
	global_store_dwordx4 v37, v[0:3], s[14:15]
	global_store_dwordx4 v37, v[22:25], s[14:15] offset:16
	global_store_dwordx4 v37, v[22:25], s[14:15] offset:32
	;; [unrolled: 1-line block ×3, first 2 shown]
	s_and_saveexec_b64 s[14:15], s[0:1]
	s_cbranch_execz .LBB11_209
; %bb.202:                              ;   in Loop: Header=BB11_2 Depth=1
	global_load_dwordx2 v[24:25], v3, s[6:7] offset:32 glc
	global_load_dwordx2 v[0:1], v3, s[6:7] offset:40
	v_mov_b32_e32 v22, s12
	v_mov_b32_e32 v23, s13
	s_waitcnt vmcnt(0)
	v_readfirstlane_b32 s16, v0
	v_readfirstlane_b32 s17, v1
	s_and_b64 s[16:17], s[16:17], s[12:13]
	s_mul_i32 s17, s17, 24
	s_mul_hi_u32 s18, s16, 24
	s_mul_i32 s16, s16, 24
	s_add_i32 s17, s18, s17
	v_mov_b32_e32 v1, s17
	v_add_co_u32_e32 v0, vcc, s16, v16
	v_addc_co_u32_e32 v1, vcc, v17, v1, vcc
	global_store_dwordx2 v[0:1], v[24:25], off
	buffer_wbl2
	s_waitcnt vmcnt(0)
	global_atomic_cmpswap_x2 v[18:19], v3, v[22:25], s[6:7] offset:32 glc
	s_waitcnt vmcnt(0)
	v_cmp_ne_u64_e32 vcc, v[18:19], v[24:25]
	s_and_saveexec_b64 s[16:17], vcc
	s_cbranch_execz .LBB11_205
; %bb.203:                              ;   in Loop: Header=BB11_2 Depth=1
	s_mov_b64 s[18:19], 0
.LBB11_204:                             ;   Parent Loop BB11_2 Depth=1
                                        ; =>  This Inner Loop Header: Depth=2
	s_sleep 1
	global_store_dwordx2 v[0:1], v[18:19], off
	v_mov_b32_e32 v16, s12
	v_mov_b32_e32 v17, s13
	buffer_wbl2
	s_waitcnt vmcnt(0)
	global_atomic_cmpswap_x2 v[16:17], v3, v[16:19], s[6:7] offset:32 glc
	s_waitcnt vmcnt(0)
	v_cmp_eq_u64_e32 vcc, v[16:17], v[18:19]
	s_or_b64 s[18:19], vcc, s[18:19]
	v_pk_mov_b32 v[18:19], v[16:17], v[16:17] op_sel:[0,1]
	s_andn2_b64 exec, exec, s[18:19]
	s_cbranch_execnz .LBB11_204
.LBB11_205:                             ;   in Loop: Header=BB11_2 Depth=1
	s_or_b64 exec, exec, s[16:17]
	global_load_dwordx2 v[0:1], v3, s[6:7] offset:16
	s_mov_b64 s[18:19], exec
	v_mbcnt_lo_u32_b32 v2, s18, 0
	v_mbcnt_hi_u32_b32 v2, s19, v2
	v_cmp_eq_u32_e32 vcc, 0, v2
	s_and_saveexec_b64 s[16:17], vcc
	s_cbranch_execz .LBB11_207
; %bb.206:                              ;   in Loop: Header=BB11_2 Depth=1
	s_bcnt1_i32_b64 s18, s[18:19]
	v_mov_b32_e32 v2, s18
	buffer_wbl2
	s_waitcnt vmcnt(0)
	global_atomic_add_x2 v[0:1], v[2:3], off offset:8
.LBB11_207:                             ;   in Loop: Header=BB11_2 Depth=1
	s_or_b64 exec, exec, s[16:17]
	s_waitcnt vmcnt(0)
	global_load_dwordx2 v[16:17], v[0:1], off offset:16
	s_waitcnt vmcnt(0)
	v_cmp_eq_u64_e32 vcc, 0, v[16:17]
	s_cbranch_vccnz .LBB11_209
; %bb.208:                              ;   in Loop: Header=BB11_2 Depth=1
	global_load_dword v2, v[0:1], off offset:24
	s_waitcnt vmcnt(0)
	v_and_b32_e32 v0, 0xffffff, v2
	v_readfirstlane_b32 m0, v0
	buffer_wbl2
	global_store_dwordx2 v[16:17], v[2:3], off
	s_sendmsg sendmsg(MSG_INTERRUPT)
.LBB11_209:                             ;   in Loop: Header=BB11_2 Depth=1
	s_or_b64 exec, exec, s[14:15]
	v_add_co_u32_e32 v0, vcc, v4, v37
	v_addc_co_u32_e32 v1, vcc, 0, v5, vcc
	s_branch .LBB11_213
.LBB11_210:                             ;   in Loop: Header=BB11_213 Depth=2
	s_or_b64 exec, exec, s[14:15]
	v_readfirstlane_b32 s14, v2
	s_cmp_eq_u32 s14, 0
	s_cbranch_scc1 .LBB11_212
; %bb.211:                              ;   in Loop: Header=BB11_213 Depth=2
	s_sleep 1
	s_cbranch_execnz .LBB11_213
	s_branch .LBB11_215
.LBB11_212:                             ;   in Loop: Header=BB11_2 Depth=1
	s_branch .LBB11_215
.LBB11_213:                             ;   Parent Loop BB11_2 Depth=1
                                        ; =>  This Inner Loop Header: Depth=2
	v_mov_b32_e32 v2, 1
	s_and_saveexec_b64 s[14:15], s[0:1]
	s_cbranch_execz .LBB11_210
; %bb.214:                              ;   in Loop: Header=BB11_213 Depth=2
	global_load_dword v2, v[20:21], off offset:20 glc
	s_waitcnt vmcnt(0)
	buffer_invl2
	buffer_wbinvl1_vol
	v_and_b32_e32 v2, 1, v2
	s_branch .LBB11_210
.LBB11_215:                             ;   in Loop: Header=BB11_2 Depth=1
	global_load_dwordx2 v[0:1], v[0:1], off
	s_and_saveexec_b64 s[14:15], s[0:1]
	s_cbranch_execz .LBB11_219
; %bb.216:                              ;   in Loop: Header=BB11_2 Depth=1
	global_load_dwordx2 v[4:5], v3, s[6:7] offset:40
	global_load_dwordx2 v[20:21], v3, s[6:7] offset:24 glc
	global_load_dwordx2 v[22:23], v3, s[6:7]
	v_mov_b32_e32 v2, s13
	s_waitcnt vmcnt(2)
	v_add_co_u32_e32 v19, vcc, 1, v4
	v_addc_co_u32_e32 v24, vcc, 0, v5, vcc
	v_add_co_u32_e32 v16, vcc, s12, v19
	v_addc_co_u32_e32 v17, vcc, v24, v2, vcc
	v_cmp_eq_u64_e32 vcc, 0, v[16:17]
	v_cndmask_b32_e32 v17, v17, v24, vcc
	v_cndmask_b32_e32 v16, v16, v19, vcc
	v_and_b32_e32 v2, v17, v5
	v_and_b32_e32 v4, v16, v4
	v_mul_lo_u32 v2, v2, 24
	v_mul_hi_u32 v5, v4, 24
	v_mul_lo_u32 v4, v4, 24
	v_add_u32_e32 v2, v5, v2
	s_waitcnt vmcnt(0)
	v_add_co_u32_e32 v4, vcc, v22, v4
	v_addc_co_u32_e32 v5, vcc, v23, v2, vcc
	v_mov_b32_e32 v18, v20
	global_store_dwordx2 v[4:5], v[20:21], off
	v_mov_b32_e32 v19, v21
	buffer_wbl2
	s_waitcnt vmcnt(0)
	global_atomic_cmpswap_x2 v[18:19], v3, v[16:19], s[6:7] offset:24 glc
	s_waitcnt vmcnt(0)
	v_cmp_ne_u64_e32 vcc, v[18:19], v[20:21]
	s_and_b64 exec, exec, vcc
	s_cbranch_execz .LBB11_219
; %bb.217:                              ;   in Loop: Header=BB11_2 Depth=1
	s_mov_b64 s[0:1], 0
.LBB11_218:                             ;   Parent Loop BB11_2 Depth=1
                                        ; =>  This Inner Loop Header: Depth=2
	s_sleep 1
	global_store_dwordx2 v[4:5], v[18:19], off
	buffer_wbl2
	s_waitcnt vmcnt(0)
	global_atomic_cmpswap_x2 v[20:21], v3, v[16:19], s[6:7] offset:24 glc
	s_waitcnt vmcnt(0)
	v_cmp_eq_u64_e32 vcc, v[20:21], v[18:19]
	s_or_b64 s[0:1], vcc, s[0:1]
	v_pk_mov_b32 v[18:19], v[20:21], v[20:21] op_sel:[0,1]
	s_andn2_b64 exec, exec, s[0:1]
	s_cbranch_execnz .LBB11_218
.LBB11_219:                             ;   in Loop: Header=BB11_2 Depth=1
	s_or_b64 exec, exec, s[14:15]
	v_readfirstlane_b32 s0, v36
	v_cmp_eq_u32_e64 s[0:1], s0, v36
	v_pk_mov_b32 v[4:5], 0, 0
	s_and_saveexec_b64 s[12:13], s[0:1]
	s_cbranch_execz .LBB11_225
; %bb.220:                              ;   in Loop: Header=BB11_2 Depth=1
	global_load_dwordx2 v[18:19], v3, s[6:7] offset:24 glc
	s_waitcnt vmcnt(0)
	buffer_invl2
	buffer_wbinvl1_vol
	global_load_dwordx2 v[4:5], v3, s[6:7] offset:40
	global_load_dwordx2 v[16:17], v3, s[6:7]
	s_waitcnt vmcnt(1)
	v_and_b32_e32 v2, v4, v18
	v_and_b32_e32 v4, v5, v19
	v_mul_lo_u32 v4, v4, 24
	v_mul_hi_u32 v5, v2, 24
	v_mul_lo_u32 v2, v2, 24
	v_add_u32_e32 v5, v5, v4
	s_waitcnt vmcnt(0)
	v_add_co_u32_e32 v4, vcc, v16, v2
	v_addc_co_u32_e32 v5, vcc, v17, v5, vcc
	global_load_dwordx2 v[16:17], v[4:5], off glc
	s_waitcnt vmcnt(0)
	global_atomic_cmpswap_x2 v[4:5], v3, v[16:19], s[6:7] offset:24 glc
	s_waitcnt vmcnt(0)
	buffer_invl2
	buffer_wbinvl1_vol
	v_cmp_ne_u64_e32 vcc, v[4:5], v[18:19]
	s_and_saveexec_b64 s[14:15], vcc
	s_cbranch_execz .LBB11_224
; %bb.221:                              ;   in Loop: Header=BB11_2 Depth=1
	s_mov_b64 s[16:17], 0
.LBB11_222:                             ;   Parent Loop BB11_2 Depth=1
                                        ; =>  This Inner Loop Header: Depth=2
	s_sleep 1
	global_load_dwordx2 v[16:17], v3, s[6:7] offset:40
	global_load_dwordx2 v[20:21], v3, s[6:7]
	v_pk_mov_b32 v[18:19], v[4:5], v[4:5] op_sel:[0,1]
	s_waitcnt vmcnt(1)
	v_and_b32_e32 v2, v16, v18
	s_waitcnt vmcnt(0)
	v_mad_u64_u32 v[4:5], s[18:19], v2, 24, v[20:21]
	v_and_b32_e32 v17, v17, v19
	v_mov_b32_e32 v2, v5
	v_mad_u64_u32 v[16:17], s[18:19], v17, 24, v[2:3]
	v_mov_b32_e32 v5, v16
	global_load_dwordx2 v[16:17], v[4:5], off glc
	s_waitcnt vmcnt(0)
	global_atomic_cmpswap_x2 v[4:5], v3, v[16:19], s[6:7] offset:24 glc
	s_waitcnt vmcnt(0)
	buffer_invl2
	buffer_wbinvl1_vol
	v_cmp_eq_u64_e32 vcc, v[4:5], v[18:19]
	s_or_b64 s[16:17], vcc, s[16:17]
	s_andn2_b64 exec, exec, s[16:17]
	s_cbranch_execnz .LBB11_222
; %bb.223:                              ;   in Loop: Header=BB11_2 Depth=1
	s_or_b64 exec, exec, s[16:17]
.LBB11_224:                             ;   in Loop: Header=BB11_2 Depth=1
	s_or_b64 exec, exec, s[14:15]
.LBB11_225:                             ;   in Loop: Header=BB11_2 Depth=1
	s_or_b64 exec, exec, s[12:13]
	global_load_dwordx2 v[20:21], v3, s[6:7] offset:40
	global_load_dwordx4 v[16:19], v3, s[6:7]
	v_readfirstlane_b32 s12, v4
	v_readfirstlane_b32 s13, v5
	s_mov_b64 s[14:15], exec
	s_waitcnt vmcnt(1)
	v_readfirstlane_b32 s16, v20
	v_readfirstlane_b32 s17, v21
	s_and_b64 s[16:17], s[12:13], s[16:17]
	s_mul_i32 s18, s17, 24
	s_mul_hi_u32 s19, s16, 24
	s_mul_i32 s20, s16, 24
	s_add_i32 s18, s19, s18
	v_mov_b32_e32 v2, s18
	s_waitcnt vmcnt(0)
	v_add_co_u32_e32 v20, vcc, s20, v16
	v_addc_co_u32_e32 v21, vcc, v17, v2, vcc
	s_and_saveexec_b64 s[18:19], s[0:1]
	s_cbranch_execz .LBB11_227
; %bb.226:                              ;   in Loop: Header=BB11_2 Depth=1
	v_pk_mov_b32 v[4:5], s[14:15], s[14:15] op_sel:[0,1]
	global_store_dwordx4 v[20:21], v[4:7], off offset:8
.LBB11_227:                             ;   in Loop: Header=BB11_2 Depth=1
	s_or_b64 exec, exec, s[18:19]
	s_lshl_b64 s[14:15], s[16:17], 12
	v_mov_b32_e32 v2, s15
	v_add_co_u32_e32 v4, vcc, s14, v18
	v_addc_co_u32_e32 v5, vcc, v19, v2, vcc
	v_pk_mov_b32 v[24:25], s[10:11], s[10:11] op_sel:[0,1]
	v_bfe_u32 v2, v39, 27, 4
	v_and_or_b32 v0, v0, s27, 32
	v_readfirstlane_b32 s14, v4
	v_readfirstlane_b32 s15, v5
	v_pk_mov_b32 v[22:23], s[8:9], s[8:9] op_sel:[0,1]
	s_nop 3
	global_store_dwordx4 v37, v[0:3], s[14:15]
	global_store_dwordx4 v37, v[22:25], s[14:15] offset:16
	global_store_dwordx4 v37, v[22:25], s[14:15] offset:32
	;; [unrolled: 1-line block ×3, first 2 shown]
	s_and_saveexec_b64 s[14:15], s[0:1]
	s_cbranch_execz .LBB11_235
; %bb.228:                              ;   in Loop: Header=BB11_2 Depth=1
	global_load_dwordx2 v[24:25], v3, s[6:7] offset:32 glc
	global_load_dwordx2 v[0:1], v3, s[6:7] offset:40
	v_mov_b32_e32 v22, s12
	v_mov_b32_e32 v23, s13
	s_waitcnt vmcnt(0)
	v_readfirstlane_b32 s16, v0
	v_readfirstlane_b32 s17, v1
	s_and_b64 s[16:17], s[16:17], s[12:13]
	s_mul_i32 s17, s17, 24
	s_mul_hi_u32 s18, s16, 24
	s_mul_i32 s16, s16, 24
	s_add_i32 s17, s18, s17
	v_mov_b32_e32 v1, s17
	v_add_co_u32_e32 v0, vcc, s16, v16
	v_addc_co_u32_e32 v1, vcc, v17, v1, vcc
	global_store_dwordx2 v[0:1], v[24:25], off
	buffer_wbl2
	s_waitcnt vmcnt(0)
	global_atomic_cmpswap_x2 v[18:19], v3, v[22:25], s[6:7] offset:32 glc
	s_waitcnt vmcnt(0)
	v_cmp_ne_u64_e32 vcc, v[18:19], v[24:25]
	s_and_saveexec_b64 s[16:17], vcc
	s_cbranch_execz .LBB11_231
; %bb.229:                              ;   in Loop: Header=BB11_2 Depth=1
	s_mov_b64 s[18:19], 0
.LBB11_230:                             ;   Parent Loop BB11_2 Depth=1
                                        ; =>  This Inner Loop Header: Depth=2
	s_sleep 1
	global_store_dwordx2 v[0:1], v[18:19], off
	v_mov_b32_e32 v16, s12
	v_mov_b32_e32 v17, s13
	buffer_wbl2
	s_waitcnt vmcnt(0)
	global_atomic_cmpswap_x2 v[16:17], v3, v[16:19], s[6:7] offset:32 glc
	s_waitcnt vmcnt(0)
	v_cmp_eq_u64_e32 vcc, v[16:17], v[18:19]
	s_or_b64 s[18:19], vcc, s[18:19]
	v_pk_mov_b32 v[18:19], v[16:17], v[16:17] op_sel:[0,1]
	s_andn2_b64 exec, exec, s[18:19]
	s_cbranch_execnz .LBB11_230
.LBB11_231:                             ;   in Loop: Header=BB11_2 Depth=1
	s_or_b64 exec, exec, s[16:17]
	global_load_dwordx2 v[0:1], v3, s[6:7] offset:16
	s_mov_b64 s[18:19], exec
	v_mbcnt_lo_u32_b32 v2, s18, 0
	v_mbcnt_hi_u32_b32 v2, s19, v2
	v_cmp_eq_u32_e32 vcc, 0, v2
	s_and_saveexec_b64 s[16:17], vcc
	s_cbranch_execz .LBB11_233
; %bb.232:                              ;   in Loop: Header=BB11_2 Depth=1
	s_bcnt1_i32_b64 s18, s[18:19]
	v_mov_b32_e32 v2, s18
	buffer_wbl2
	s_waitcnt vmcnt(0)
	global_atomic_add_x2 v[0:1], v[2:3], off offset:8
.LBB11_233:                             ;   in Loop: Header=BB11_2 Depth=1
	s_or_b64 exec, exec, s[16:17]
	s_waitcnt vmcnt(0)
	global_load_dwordx2 v[16:17], v[0:1], off offset:16
	s_waitcnt vmcnt(0)
	v_cmp_eq_u64_e32 vcc, 0, v[16:17]
	s_cbranch_vccnz .LBB11_235
; %bb.234:                              ;   in Loop: Header=BB11_2 Depth=1
	global_load_dword v2, v[0:1], off offset:24
	s_waitcnt vmcnt(0)
	v_and_b32_e32 v0, 0xffffff, v2
	v_readfirstlane_b32 m0, v0
	buffer_wbl2
	global_store_dwordx2 v[16:17], v[2:3], off
	s_sendmsg sendmsg(MSG_INTERRUPT)
.LBB11_235:                             ;   in Loop: Header=BB11_2 Depth=1
	s_or_b64 exec, exec, s[14:15]
	v_add_co_u32_e32 v0, vcc, v4, v37
	v_addc_co_u32_e32 v1, vcc, 0, v5, vcc
	s_branch .LBB11_239
.LBB11_236:                             ;   in Loop: Header=BB11_239 Depth=2
	s_or_b64 exec, exec, s[14:15]
	v_readfirstlane_b32 s14, v2
	s_cmp_eq_u32 s14, 0
	s_cbranch_scc1 .LBB11_238
; %bb.237:                              ;   in Loop: Header=BB11_239 Depth=2
	s_sleep 1
	s_cbranch_execnz .LBB11_239
	s_branch .LBB11_241
.LBB11_238:                             ;   in Loop: Header=BB11_2 Depth=1
	s_branch .LBB11_241
.LBB11_239:                             ;   Parent Loop BB11_2 Depth=1
                                        ; =>  This Inner Loop Header: Depth=2
	v_mov_b32_e32 v2, 1
	s_and_saveexec_b64 s[14:15], s[0:1]
	s_cbranch_execz .LBB11_236
; %bb.240:                              ;   in Loop: Header=BB11_239 Depth=2
	global_load_dword v2, v[20:21], off offset:20 glc
	s_waitcnt vmcnt(0)
	buffer_invl2
	buffer_wbinvl1_vol
	v_and_b32_e32 v2, 1, v2
	s_branch .LBB11_236
.LBB11_241:                             ;   in Loop: Header=BB11_2 Depth=1
	global_load_dwordx2 v[0:1], v[0:1], off
	s_and_saveexec_b64 s[14:15], s[0:1]
	s_cbranch_execz .LBB11_245
; %bb.242:                              ;   in Loop: Header=BB11_2 Depth=1
	global_load_dwordx2 v[4:5], v3, s[6:7] offset:40
	global_load_dwordx2 v[20:21], v3, s[6:7] offset:24 glc
	global_load_dwordx2 v[22:23], v3, s[6:7]
	v_mov_b32_e32 v2, s13
	s_waitcnt vmcnt(2)
	v_add_co_u32_e32 v19, vcc, 1, v4
	v_addc_co_u32_e32 v24, vcc, 0, v5, vcc
	v_add_co_u32_e32 v16, vcc, s12, v19
	v_addc_co_u32_e32 v17, vcc, v24, v2, vcc
	v_cmp_eq_u64_e32 vcc, 0, v[16:17]
	v_cndmask_b32_e32 v17, v17, v24, vcc
	v_cndmask_b32_e32 v16, v16, v19, vcc
	v_and_b32_e32 v2, v17, v5
	v_and_b32_e32 v4, v16, v4
	v_mul_lo_u32 v2, v2, 24
	v_mul_hi_u32 v5, v4, 24
	v_mul_lo_u32 v4, v4, 24
	v_add_u32_e32 v2, v5, v2
	s_waitcnt vmcnt(0)
	v_add_co_u32_e32 v4, vcc, v22, v4
	v_addc_co_u32_e32 v5, vcc, v23, v2, vcc
	v_mov_b32_e32 v18, v20
	global_store_dwordx2 v[4:5], v[20:21], off
	v_mov_b32_e32 v19, v21
	buffer_wbl2
	s_waitcnt vmcnt(0)
	global_atomic_cmpswap_x2 v[18:19], v3, v[16:19], s[6:7] offset:24 glc
	s_waitcnt vmcnt(0)
	v_cmp_ne_u64_e32 vcc, v[18:19], v[20:21]
	s_and_b64 exec, exec, vcc
	s_cbranch_execz .LBB11_245
; %bb.243:                              ;   in Loop: Header=BB11_2 Depth=1
	s_mov_b64 s[0:1], 0
.LBB11_244:                             ;   Parent Loop BB11_2 Depth=1
                                        ; =>  This Inner Loop Header: Depth=2
	s_sleep 1
	global_store_dwordx2 v[4:5], v[18:19], off
	buffer_wbl2
	s_waitcnt vmcnt(0)
	global_atomic_cmpswap_x2 v[20:21], v3, v[16:19], s[6:7] offset:24 glc
	s_waitcnt vmcnt(0)
	v_cmp_eq_u64_e32 vcc, v[20:21], v[18:19]
	s_or_b64 s[0:1], vcc, s[0:1]
	v_pk_mov_b32 v[18:19], v[20:21], v[20:21] op_sel:[0,1]
	s_andn2_b64 exec, exec, s[0:1]
	s_cbranch_execnz .LBB11_244
.LBB11_245:                             ;   in Loop: Header=BB11_2 Depth=1
	s_or_b64 exec, exec, s[14:15]
	v_readfirstlane_b32 s0, v36
	v_cmp_eq_u32_e64 s[0:1], s0, v36
	v_pk_mov_b32 v[4:5], 0, 0
	s_and_saveexec_b64 s[12:13], s[0:1]
	s_cbranch_execz .LBB11_251
; %bb.246:                              ;   in Loop: Header=BB11_2 Depth=1
	global_load_dwordx2 v[18:19], v3, s[6:7] offset:24 glc
	s_waitcnt vmcnt(0)
	buffer_invl2
	buffer_wbinvl1_vol
	global_load_dwordx2 v[4:5], v3, s[6:7] offset:40
	global_load_dwordx2 v[16:17], v3, s[6:7]
	s_waitcnt vmcnt(1)
	v_and_b32_e32 v2, v4, v18
	v_and_b32_e32 v4, v5, v19
	v_mul_lo_u32 v4, v4, 24
	v_mul_hi_u32 v5, v2, 24
	v_mul_lo_u32 v2, v2, 24
	v_add_u32_e32 v5, v5, v4
	s_waitcnt vmcnt(0)
	v_add_co_u32_e32 v4, vcc, v16, v2
	v_addc_co_u32_e32 v5, vcc, v17, v5, vcc
	global_load_dwordx2 v[16:17], v[4:5], off glc
	s_waitcnt vmcnt(0)
	global_atomic_cmpswap_x2 v[4:5], v3, v[16:19], s[6:7] offset:24 glc
	s_waitcnt vmcnt(0)
	buffer_invl2
	buffer_wbinvl1_vol
	v_cmp_ne_u64_e32 vcc, v[4:5], v[18:19]
	s_and_saveexec_b64 s[14:15], vcc
	s_cbranch_execz .LBB11_250
; %bb.247:                              ;   in Loop: Header=BB11_2 Depth=1
	s_mov_b64 s[16:17], 0
.LBB11_248:                             ;   Parent Loop BB11_2 Depth=1
                                        ; =>  This Inner Loop Header: Depth=2
	s_sleep 1
	global_load_dwordx2 v[16:17], v3, s[6:7] offset:40
	global_load_dwordx2 v[20:21], v3, s[6:7]
	v_pk_mov_b32 v[18:19], v[4:5], v[4:5] op_sel:[0,1]
	s_waitcnt vmcnt(1)
	v_and_b32_e32 v2, v16, v18
	s_waitcnt vmcnt(0)
	v_mad_u64_u32 v[4:5], s[18:19], v2, 24, v[20:21]
	v_and_b32_e32 v17, v17, v19
	v_mov_b32_e32 v2, v5
	v_mad_u64_u32 v[16:17], s[18:19], v17, 24, v[2:3]
	v_mov_b32_e32 v5, v16
	global_load_dwordx2 v[16:17], v[4:5], off glc
	s_waitcnt vmcnt(0)
	global_atomic_cmpswap_x2 v[4:5], v3, v[16:19], s[6:7] offset:24 glc
	s_waitcnt vmcnt(0)
	buffer_invl2
	buffer_wbinvl1_vol
	v_cmp_eq_u64_e32 vcc, v[4:5], v[18:19]
	s_or_b64 s[16:17], vcc, s[16:17]
	s_andn2_b64 exec, exec, s[16:17]
	s_cbranch_execnz .LBB11_248
; %bb.249:                              ;   in Loop: Header=BB11_2 Depth=1
	s_or_b64 exec, exec, s[16:17]
.LBB11_250:                             ;   in Loop: Header=BB11_2 Depth=1
	s_or_b64 exec, exec, s[14:15]
.LBB11_251:                             ;   in Loop: Header=BB11_2 Depth=1
	s_or_b64 exec, exec, s[12:13]
	global_load_dwordx2 v[20:21], v3, s[6:7] offset:40
	global_load_dwordx4 v[16:19], v3, s[6:7]
	v_readfirstlane_b32 s12, v4
	v_readfirstlane_b32 s13, v5
	s_mov_b64 s[14:15], exec
	s_waitcnt vmcnt(1)
	v_readfirstlane_b32 s16, v20
	v_readfirstlane_b32 s17, v21
	s_and_b64 s[16:17], s[12:13], s[16:17]
	s_mul_i32 s18, s17, 24
	s_mul_hi_u32 s19, s16, 24
	s_mul_i32 s20, s16, 24
	s_add_i32 s18, s19, s18
	v_mov_b32_e32 v2, s18
	s_waitcnt vmcnt(0)
	v_add_co_u32_e32 v20, vcc, s20, v16
	v_addc_co_u32_e32 v21, vcc, v17, v2, vcc
	s_and_saveexec_b64 s[18:19], s[0:1]
	s_cbranch_execz .LBB11_253
; %bb.252:                              ;   in Loop: Header=BB11_2 Depth=1
	v_pk_mov_b32 v[4:5], s[14:15], s[14:15] op_sel:[0,1]
	global_store_dwordx4 v[20:21], v[4:7], off offset:8
.LBB11_253:                             ;   in Loop: Header=BB11_2 Depth=1
	s_or_b64 exec, exec, s[18:19]
	s_lshl_b64 s[14:15], s[16:17], 12
	v_mov_b32_e32 v2, s15
	v_add_co_u32_e32 v4, vcc, s14, v18
	v_addc_co_u32_e32 v5, vcc, v19, v2, vcc
	v_pk_mov_b32 v[24:25], s[10:11], s[10:11] op_sel:[0,1]
	v_and_or_b32 v0, v0, s27, 32
	v_mov_b32_e32 v2, v12
	v_readfirstlane_b32 s14, v4
	v_readfirstlane_b32 s15, v5
	v_pk_mov_b32 v[22:23], s[8:9], s[8:9] op_sel:[0,1]
	s_nop 3
	global_store_dwordx4 v37, v[0:3], s[14:15]
	global_store_dwordx4 v37, v[22:25], s[14:15] offset:16
	global_store_dwordx4 v37, v[22:25], s[14:15] offset:32
	global_store_dwordx4 v37, v[22:25], s[14:15] offset:48
	s_and_saveexec_b64 s[14:15], s[0:1]
	s_cbranch_execz .LBB11_261
; %bb.254:                              ;   in Loop: Header=BB11_2 Depth=1
	global_load_dwordx2 v[24:25], v3, s[6:7] offset:32 glc
	global_load_dwordx2 v[0:1], v3, s[6:7] offset:40
	v_mov_b32_e32 v22, s12
	v_mov_b32_e32 v23, s13
	s_waitcnt vmcnt(0)
	v_readfirstlane_b32 s16, v0
	v_readfirstlane_b32 s17, v1
	s_and_b64 s[16:17], s[16:17], s[12:13]
	s_mul_i32 s17, s17, 24
	s_mul_hi_u32 s18, s16, 24
	s_mul_i32 s16, s16, 24
	s_add_i32 s17, s18, s17
	v_mov_b32_e32 v1, s17
	v_add_co_u32_e32 v0, vcc, s16, v16
	v_addc_co_u32_e32 v1, vcc, v17, v1, vcc
	global_store_dwordx2 v[0:1], v[24:25], off
	buffer_wbl2
	s_waitcnt vmcnt(0)
	global_atomic_cmpswap_x2 v[18:19], v3, v[22:25], s[6:7] offset:32 glc
	s_waitcnt vmcnt(0)
	v_cmp_ne_u64_e32 vcc, v[18:19], v[24:25]
	s_and_saveexec_b64 s[16:17], vcc
	s_cbranch_execz .LBB11_257
; %bb.255:                              ;   in Loop: Header=BB11_2 Depth=1
	s_mov_b64 s[18:19], 0
.LBB11_256:                             ;   Parent Loop BB11_2 Depth=1
                                        ; =>  This Inner Loop Header: Depth=2
	s_sleep 1
	global_store_dwordx2 v[0:1], v[18:19], off
	v_mov_b32_e32 v16, s12
	v_mov_b32_e32 v17, s13
	buffer_wbl2
	s_waitcnt vmcnt(0)
	global_atomic_cmpswap_x2 v[16:17], v3, v[16:19], s[6:7] offset:32 glc
	s_waitcnt vmcnt(0)
	v_cmp_eq_u64_e32 vcc, v[16:17], v[18:19]
	s_or_b64 s[18:19], vcc, s[18:19]
	v_pk_mov_b32 v[18:19], v[16:17], v[16:17] op_sel:[0,1]
	s_andn2_b64 exec, exec, s[18:19]
	s_cbranch_execnz .LBB11_256
.LBB11_257:                             ;   in Loop: Header=BB11_2 Depth=1
	s_or_b64 exec, exec, s[16:17]
	global_load_dwordx2 v[0:1], v3, s[6:7] offset:16
	s_mov_b64 s[18:19], exec
	v_mbcnt_lo_u32_b32 v2, s18, 0
	v_mbcnt_hi_u32_b32 v2, s19, v2
	v_cmp_eq_u32_e32 vcc, 0, v2
	s_and_saveexec_b64 s[16:17], vcc
	s_cbranch_execz .LBB11_259
; %bb.258:                              ;   in Loop: Header=BB11_2 Depth=1
	s_bcnt1_i32_b64 s18, s[18:19]
	v_mov_b32_e32 v2, s18
	buffer_wbl2
	s_waitcnt vmcnt(0)
	global_atomic_add_x2 v[0:1], v[2:3], off offset:8
.LBB11_259:                             ;   in Loop: Header=BB11_2 Depth=1
	s_or_b64 exec, exec, s[16:17]
	s_waitcnt vmcnt(0)
	global_load_dwordx2 v[16:17], v[0:1], off offset:16
	s_waitcnt vmcnt(0)
	v_cmp_eq_u64_e32 vcc, 0, v[16:17]
	s_cbranch_vccnz .LBB11_261
; %bb.260:                              ;   in Loop: Header=BB11_2 Depth=1
	global_load_dword v2, v[0:1], off offset:24
	s_waitcnt vmcnt(0)
	v_and_b32_e32 v0, 0xffffff, v2
	v_readfirstlane_b32 m0, v0
	buffer_wbl2
	global_store_dwordx2 v[16:17], v[2:3], off
	s_sendmsg sendmsg(MSG_INTERRUPT)
.LBB11_261:                             ;   in Loop: Header=BB11_2 Depth=1
	s_or_b64 exec, exec, s[14:15]
	v_add_co_u32_e32 v0, vcc, v4, v37
	v_addc_co_u32_e32 v1, vcc, 0, v5, vcc
	s_branch .LBB11_265
.LBB11_262:                             ;   in Loop: Header=BB11_265 Depth=2
	s_or_b64 exec, exec, s[14:15]
	v_readfirstlane_b32 s14, v2
	s_cmp_eq_u32 s14, 0
	s_cbranch_scc1 .LBB11_264
; %bb.263:                              ;   in Loop: Header=BB11_265 Depth=2
	s_sleep 1
	s_cbranch_execnz .LBB11_265
	s_branch .LBB11_267
.LBB11_264:                             ;   in Loop: Header=BB11_2 Depth=1
	s_branch .LBB11_267
.LBB11_265:                             ;   Parent Loop BB11_2 Depth=1
                                        ; =>  This Inner Loop Header: Depth=2
	v_mov_b32_e32 v2, 1
	s_and_saveexec_b64 s[14:15], s[0:1]
	s_cbranch_execz .LBB11_262
; %bb.266:                              ;   in Loop: Header=BB11_265 Depth=2
	global_load_dword v2, v[20:21], off offset:20 glc
	s_waitcnt vmcnt(0)
	buffer_invl2
	buffer_wbinvl1_vol
	v_and_b32_e32 v2, 1, v2
	s_branch .LBB11_262
.LBB11_267:                             ;   in Loop: Header=BB11_2 Depth=1
	global_load_dwordx2 v[0:1], v[0:1], off
	s_and_saveexec_b64 s[14:15], s[0:1]
	s_cbranch_execz .LBB11_271
; %bb.268:                              ;   in Loop: Header=BB11_2 Depth=1
	global_load_dwordx2 v[4:5], v3, s[6:7] offset:40
	global_load_dwordx2 v[20:21], v3, s[6:7] offset:24 glc
	global_load_dwordx2 v[22:23], v3, s[6:7]
	v_mov_b32_e32 v2, s13
	s_waitcnt vmcnt(2)
	v_add_co_u32_e32 v12, vcc, 1, v4
	v_addc_co_u32_e32 v19, vcc, 0, v5, vcc
	v_add_co_u32_e32 v16, vcc, s12, v12
	v_addc_co_u32_e32 v17, vcc, v19, v2, vcc
	v_cmp_eq_u64_e32 vcc, 0, v[16:17]
	v_cndmask_b32_e32 v17, v17, v19, vcc
	v_cndmask_b32_e32 v16, v16, v12, vcc
	v_and_b32_e32 v2, v17, v5
	v_and_b32_e32 v4, v16, v4
	v_mul_lo_u32 v2, v2, 24
	v_mul_hi_u32 v5, v4, 24
	v_mul_lo_u32 v4, v4, 24
	v_add_u32_e32 v2, v5, v2
	s_waitcnt vmcnt(0)
	v_add_co_u32_e32 v4, vcc, v22, v4
	v_addc_co_u32_e32 v5, vcc, v23, v2, vcc
	v_mov_b32_e32 v18, v20
	global_store_dwordx2 v[4:5], v[20:21], off
	v_mov_b32_e32 v19, v21
	buffer_wbl2
	s_waitcnt vmcnt(0)
	global_atomic_cmpswap_x2 v[18:19], v3, v[16:19], s[6:7] offset:24 glc
	s_waitcnt vmcnt(0)
	v_cmp_ne_u64_e32 vcc, v[18:19], v[20:21]
	s_and_b64 exec, exec, vcc
	s_cbranch_execz .LBB11_271
; %bb.269:                              ;   in Loop: Header=BB11_2 Depth=1
	s_mov_b64 s[0:1], 0
.LBB11_270:                             ;   Parent Loop BB11_2 Depth=1
                                        ; =>  This Inner Loop Header: Depth=2
	s_sleep 1
	global_store_dwordx2 v[4:5], v[18:19], off
	buffer_wbl2
	s_waitcnt vmcnt(0)
	global_atomic_cmpswap_x2 v[20:21], v3, v[16:19], s[6:7] offset:24 glc
	s_waitcnt vmcnt(0)
	v_cmp_eq_u64_e32 vcc, v[20:21], v[18:19]
	s_or_b64 s[0:1], vcc, s[0:1]
	v_pk_mov_b32 v[18:19], v[20:21], v[20:21] op_sel:[0,1]
	s_andn2_b64 exec, exec, s[0:1]
	s_cbranch_execnz .LBB11_270
.LBB11_271:                             ;   in Loop: Header=BB11_2 Depth=1
	s_or_b64 exec, exec, s[14:15]
	v_readfirstlane_b32 s0, v36
	v_cmp_eq_u32_e64 s[0:1], s0, v36
	v_pk_mov_b32 v[4:5], 0, 0
	s_and_saveexec_b64 s[12:13], s[0:1]
	s_cbranch_execz .LBB11_277
; %bb.272:                              ;   in Loop: Header=BB11_2 Depth=1
	global_load_dwordx2 v[18:19], v3, s[6:7] offset:24 glc
	s_waitcnt vmcnt(0)
	buffer_invl2
	buffer_wbinvl1_vol
	global_load_dwordx2 v[4:5], v3, s[6:7] offset:40
	global_load_dwordx2 v[16:17], v3, s[6:7]
	s_waitcnt vmcnt(1)
	v_and_b32_e32 v2, v4, v18
	v_and_b32_e32 v4, v5, v19
	v_mul_lo_u32 v4, v4, 24
	v_mul_hi_u32 v5, v2, 24
	v_mul_lo_u32 v2, v2, 24
	v_add_u32_e32 v5, v5, v4
	s_waitcnt vmcnt(0)
	v_add_co_u32_e32 v4, vcc, v16, v2
	v_addc_co_u32_e32 v5, vcc, v17, v5, vcc
	global_load_dwordx2 v[16:17], v[4:5], off glc
	s_waitcnt vmcnt(0)
	global_atomic_cmpswap_x2 v[4:5], v3, v[16:19], s[6:7] offset:24 glc
	s_waitcnt vmcnt(0)
	buffer_invl2
	buffer_wbinvl1_vol
	v_cmp_ne_u64_e32 vcc, v[4:5], v[18:19]
	s_and_saveexec_b64 s[14:15], vcc
	s_cbranch_execz .LBB11_276
; %bb.273:                              ;   in Loop: Header=BB11_2 Depth=1
	s_mov_b64 s[16:17], 0
.LBB11_274:                             ;   Parent Loop BB11_2 Depth=1
                                        ; =>  This Inner Loop Header: Depth=2
	s_sleep 1
	global_load_dwordx2 v[16:17], v3, s[6:7] offset:40
	global_load_dwordx2 v[20:21], v3, s[6:7]
	v_pk_mov_b32 v[18:19], v[4:5], v[4:5] op_sel:[0,1]
	s_waitcnt vmcnt(1)
	v_and_b32_e32 v2, v16, v18
	s_waitcnt vmcnt(0)
	v_mad_u64_u32 v[4:5], s[18:19], v2, 24, v[20:21]
	v_and_b32_e32 v12, v17, v19
	v_mov_b32_e32 v2, v5
	v_mad_u64_u32 v[16:17], s[18:19], v12, 24, v[2:3]
	v_mov_b32_e32 v5, v16
	global_load_dwordx2 v[16:17], v[4:5], off glc
	s_waitcnt vmcnt(0)
	global_atomic_cmpswap_x2 v[4:5], v3, v[16:19], s[6:7] offset:24 glc
	s_waitcnt vmcnt(0)
	buffer_invl2
	buffer_wbinvl1_vol
	v_cmp_eq_u64_e32 vcc, v[4:5], v[18:19]
	s_or_b64 s[16:17], vcc, s[16:17]
	s_andn2_b64 exec, exec, s[16:17]
	s_cbranch_execnz .LBB11_274
; %bb.275:                              ;   in Loop: Header=BB11_2 Depth=1
	s_or_b64 exec, exec, s[16:17]
.LBB11_276:                             ;   in Loop: Header=BB11_2 Depth=1
	s_or_b64 exec, exec, s[14:15]
.LBB11_277:                             ;   in Loop: Header=BB11_2 Depth=1
	s_or_b64 exec, exec, s[12:13]
	global_load_dwordx2 v[20:21], v3, s[6:7] offset:40
	global_load_dwordx4 v[16:19], v3, s[6:7]
	v_readfirstlane_b32 s12, v4
	v_readfirstlane_b32 s13, v5
	s_mov_b64 s[14:15], exec
	s_waitcnt vmcnt(1)
	v_readfirstlane_b32 s16, v20
	v_readfirstlane_b32 s17, v21
	s_and_b64 s[16:17], s[12:13], s[16:17]
	s_mul_i32 s18, s17, 24
	s_mul_hi_u32 s19, s16, 24
	s_mul_i32 s20, s16, 24
	s_add_i32 s18, s19, s18
	v_mov_b32_e32 v2, s18
	s_waitcnt vmcnt(0)
	v_add_co_u32_e32 v20, vcc, s20, v16
	v_addc_co_u32_e32 v21, vcc, v17, v2, vcc
	s_and_saveexec_b64 s[18:19], s[0:1]
	s_cbranch_execz .LBB11_279
; %bb.278:                              ;   in Loop: Header=BB11_2 Depth=1
	v_pk_mov_b32 v[4:5], s[14:15], s[14:15] op_sel:[0,1]
	global_store_dwordx4 v[20:21], v[4:7], off offset:8
.LBB11_279:                             ;   in Loop: Header=BB11_2 Depth=1
	s_or_b64 exec, exec, s[18:19]
	s_lshl_b64 s[14:15], s[16:17], 12
	v_mov_b32_e32 v2, s15
	v_add_co_u32_e32 v4, vcc, s14, v18
	v_addc_co_u32_e32 v5, vcc, v19, v2, vcc
	v_pk_mov_b32 v[24:25], s[10:11], s[10:11] op_sel:[0,1]
	v_and_or_b32 v0, v0, s27, 32
	v_mov_b32_e32 v2, v13
	v_readfirstlane_b32 s14, v4
	v_readfirstlane_b32 s15, v5
	v_pk_mov_b32 v[22:23], s[8:9], s[8:9] op_sel:[0,1]
	s_nop 3
	global_store_dwordx4 v37, v[0:3], s[14:15]
	global_store_dwordx4 v37, v[22:25], s[14:15] offset:16
	global_store_dwordx4 v37, v[22:25], s[14:15] offset:32
	;; [unrolled: 1-line block ×3, first 2 shown]
	s_and_saveexec_b64 s[14:15], s[0:1]
	s_cbranch_execz .LBB11_287
; %bb.280:                              ;   in Loop: Header=BB11_2 Depth=1
	global_load_dwordx2 v[24:25], v3, s[6:7] offset:32 glc
	global_load_dwordx2 v[0:1], v3, s[6:7] offset:40
	v_mov_b32_e32 v22, s12
	v_mov_b32_e32 v23, s13
	s_waitcnt vmcnt(0)
	v_readfirstlane_b32 s16, v0
	v_readfirstlane_b32 s17, v1
	s_and_b64 s[16:17], s[16:17], s[12:13]
	s_mul_i32 s17, s17, 24
	s_mul_hi_u32 s18, s16, 24
	s_mul_i32 s16, s16, 24
	s_add_i32 s17, s18, s17
	v_mov_b32_e32 v1, s17
	v_add_co_u32_e32 v0, vcc, s16, v16
	v_addc_co_u32_e32 v1, vcc, v17, v1, vcc
	global_store_dwordx2 v[0:1], v[24:25], off
	buffer_wbl2
	s_waitcnt vmcnt(0)
	global_atomic_cmpswap_x2 v[18:19], v3, v[22:25], s[6:7] offset:32 glc
	s_waitcnt vmcnt(0)
	v_cmp_ne_u64_e32 vcc, v[18:19], v[24:25]
	s_and_saveexec_b64 s[16:17], vcc
	s_cbranch_execz .LBB11_283
; %bb.281:                              ;   in Loop: Header=BB11_2 Depth=1
	s_mov_b64 s[18:19], 0
.LBB11_282:                             ;   Parent Loop BB11_2 Depth=1
                                        ; =>  This Inner Loop Header: Depth=2
	s_sleep 1
	global_store_dwordx2 v[0:1], v[18:19], off
	v_mov_b32_e32 v16, s12
	v_mov_b32_e32 v17, s13
	buffer_wbl2
	s_waitcnt vmcnt(0)
	global_atomic_cmpswap_x2 v[12:13], v3, v[16:19], s[6:7] offset:32 glc
	s_waitcnt vmcnt(0)
	v_cmp_eq_u64_e32 vcc, v[12:13], v[18:19]
	s_or_b64 s[18:19], vcc, s[18:19]
	v_pk_mov_b32 v[18:19], v[12:13], v[12:13] op_sel:[0,1]
	s_andn2_b64 exec, exec, s[18:19]
	s_cbranch_execnz .LBB11_282
.LBB11_283:                             ;   in Loop: Header=BB11_2 Depth=1
	s_or_b64 exec, exec, s[16:17]
	global_load_dwordx2 v[0:1], v3, s[6:7] offset:16
	s_mov_b64 s[18:19], exec
	v_mbcnt_lo_u32_b32 v2, s18, 0
	v_mbcnt_hi_u32_b32 v2, s19, v2
	v_cmp_eq_u32_e32 vcc, 0, v2
	s_and_saveexec_b64 s[16:17], vcc
	s_cbranch_execz .LBB11_285
; %bb.284:                              ;   in Loop: Header=BB11_2 Depth=1
	s_bcnt1_i32_b64 s18, s[18:19]
	v_mov_b32_e32 v2, s18
	buffer_wbl2
	s_waitcnt vmcnt(0)
	global_atomic_add_x2 v[0:1], v[2:3], off offset:8
.LBB11_285:                             ;   in Loop: Header=BB11_2 Depth=1
	s_or_b64 exec, exec, s[16:17]
	s_waitcnt vmcnt(0)
	global_load_dwordx2 v[12:13], v[0:1], off offset:16
	s_waitcnt vmcnt(0)
	v_cmp_eq_u64_e32 vcc, 0, v[12:13]
	s_cbranch_vccnz .LBB11_287
; %bb.286:                              ;   in Loop: Header=BB11_2 Depth=1
	global_load_dword v2, v[0:1], off offset:24
	s_waitcnt vmcnt(0)
	v_and_b32_e32 v0, 0xffffff, v2
	v_readfirstlane_b32 m0, v0
	buffer_wbl2
	global_store_dwordx2 v[12:13], v[2:3], off
	s_sendmsg sendmsg(MSG_INTERRUPT)
.LBB11_287:                             ;   in Loop: Header=BB11_2 Depth=1
	s_or_b64 exec, exec, s[14:15]
	v_add_co_u32_e32 v0, vcc, v4, v37
	v_addc_co_u32_e32 v1, vcc, 0, v5, vcc
	s_branch .LBB11_291
.LBB11_288:                             ;   in Loop: Header=BB11_291 Depth=2
	s_or_b64 exec, exec, s[14:15]
	v_readfirstlane_b32 s14, v2
	s_cmp_eq_u32 s14, 0
	s_cbranch_scc1 .LBB11_290
; %bb.289:                              ;   in Loop: Header=BB11_291 Depth=2
	s_sleep 1
	s_cbranch_execnz .LBB11_291
	s_branch .LBB11_293
.LBB11_290:                             ;   in Loop: Header=BB11_2 Depth=1
	s_branch .LBB11_293
.LBB11_291:                             ;   Parent Loop BB11_2 Depth=1
                                        ; =>  This Inner Loop Header: Depth=2
	v_mov_b32_e32 v2, 1
	s_and_saveexec_b64 s[14:15], s[0:1]
	s_cbranch_execz .LBB11_288
; %bb.292:                              ;   in Loop: Header=BB11_291 Depth=2
	global_load_dword v2, v[20:21], off offset:20 glc
	s_waitcnt vmcnt(0)
	buffer_invl2
	buffer_wbinvl1_vol
	v_and_b32_e32 v2, 1, v2
	s_branch .LBB11_288
.LBB11_293:                             ;   in Loop: Header=BB11_2 Depth=1
	global_load_dwordx2 v[0:1], v[0:1], off
	s_and_saveexec_b64 s[14:15], s[0:1]
	s_cbranch_execz .LBB11_297
; %bb.294:                              ;   in Loop: Header=BB11_2 Depth=1
	global_load_dwordx2 v[4:5], v3, s[6:7] offset:40
	global_load_dwordx2 v[12:13], v3, s[6:7] offset:24 glc
	global_load_dwordx2 v[20:21], v3, s[6:7]
	v_mov_b32_e32 v2, s13
	s_waitcnt vmcnt(2)
	v_add_co_u32_e32 v19, vcc, 1, v4
	v_addc_co_u32_e32 v22, vcc, 0, v5, vcc
	v_add_co_u32_e32 v16, vcc, s12, v19
	v_addc_co_u32_e32 v17, vcc, v22, v2, vcc
	v_cmp_eq_u64_e32 vcc, 0, v[16:17]
	v_cndmask_b32_e32 v17, v17, v22, vcc
	v_cndmask_b32_e32 v16, v16, v19, vcc
	v_and_b32_e32 v2, v17, v5
	v_and_b32_e32 v4, v16, v4
	v_mul_lo_u32 v2, v2, 24
	v_mul_hi_u32 v5, v4, 24
	v_mul_lo_u32 v4, v4, 24
	v_add_u32_e32 v2, v5, v2
	s_waitcnt vmcnt(0)
	v_add_co_u32_e32 v4, vcc, v20, v4
	v_addc_co_u32_e32 v5, vcc, v21, v2, vcc
	v_mov_b32_e32 v18, v12
	global_store_dwordx2 v[4:5], v[12:13], off
	v_mov_b32_e32 v19, v13
	buffer_wbl2
	s_waitcnt vmcnt(0)
	global_atomic_cmpswap_x2 v[18:19], v3, v[16:19], s[6:7] offset:24 glc
	s_waitcnt vmcnt(0)
	v_cmp_ne_u64_e32 vcc, v[18:19], v[12:13]
	s_and_b64 exec, exec, vcc
	s_cbranch_execz .LBB11_297
; %bb.295:                              ;   in Loop: Header=BB11_2 Depth=1
	s_mov_b64 s[0:1], 0
.LBB11_296:                             ;   Parent Loop BB11_2 Depth=1
                                        ; =>  This Inner Loop Header: Depth=2
	s_sleep 1
	global_store_dwordx2 v[4:5], v[18:19], off
	buffer_wbl2
	s_waitcnt vmcnt(0)
	global_atomic_cmpswap_x2 v[12:13], v3, v[16:19], s[6:7] offset:24 glc
	s_waitcnt vmcnt(0)
	v_cmp_eq_u64_e32 vcc, v[12:13], v[18:19]
	s_or_b64 s[0:1], vcc, s[0:1]
	v_pk_mov_b32 v[18:19], v[12:13], v[12:13] op_sel:[0,1]
	s_andn2_b64 exec, exec, s[0:1]
	s_cbranch_execnz .LBB11_296
.LBB11_297:                             ;   in Loop: Header=BB11_2 Depth=1
	s_or_b64 exec, exec, s[14:15]
	v_readfirstlane_b32 s0, v36
	v_cmp_eq_u32_e64 s[0:1], s0, v36
	v_pk_mov_b32 v[4:5], 0, 0
	s_and_saveexec_b64 s[12:13], s[0:1]
	s_cbranch_execz .LBB11_303
; %bb.298:                              ;   in Loop: Header=BB11_2 Depth=1
	global_load_dwordx2 v[18:19], v3, s[6:7] offset:24 glc
	s_waitcnt vmcnt(0)
	buffer_invl2
	buffer_wbinvl1_vol
	global_load_dwordx2 v[4:5], v3, s[6:7] offset:40
	global_load_dwordx2 v[12:13], v3, s[6:7]
	s_waitcnt vmcnt(1)
	v_and_b32_e32 v2, v4, v18
	v_and_b32_e32 v4, v5, v19
	v_mul_lo_u32 v4, v4, 24
	v_mul_hi_u32 v5, v2, 24
	v_mul_lo_u32 v2, v2, 24
	v_add_u32_e32 v5, v5, v4
	s_waitcnt vmcnt(0)
	v_add_co_u32_e32 v4, vcc, v12, v2
	v_addc_co_u32_e32 v5, vcc, v13, v5, vcc
	global_load_dwordx2 v[16:17], v[4:5], off glc
	s_waitcnt vmcnt(0)
	global_atomic_cmpswap_x2 v[4:5], v3, v[16:19], s[6:7] offset:24 glc
	s_waitcnt vmcnt(0)
	buffer_invl2
	buffer_wbinvl1_vol
	v_cmp_ne_u64_e32 vcc, v[4:5], v[18:19]
	s_and_saveexec_b64 s[14:15], vcc
	s_cbranch_execz .LBB11_302
; %bb.299:                              ;   in Loop: Header=BB11_2 Depth=1
	s_mov_b64 s[16:17], 0
.LBB11_300:                             ;   Parent Loop BB11_2 Depth=1
                                        ; =>  This Inner Loop Header: Depth=2
	s_sleep 1
	global_load_dwordx2 v[12:13], v3, s[6:7] offset:40
	global_load_dwordx2 v[16:17], v3, s[6:7]
	v_pk_mov_b32 v[18:19], v[4:5], v[4:5] op_sel:[0,1]
	s_waitcnt vmcnt(1)
	v_and_b32_e32 v2, v12, v18
	s_waitcnt vmcnt(0)
	v_mad_u64_u32 v[4:5], s[18:19], v2, 24, v[16:17]
	v_and_b32_e32 v13, v13, v19
	v_mov_b32_e32 v2, v5
	v_mad_u64_u32 v[12:13], s[18:19], v13, 24, v[2:3]
	v_mov_b32_e32 v5, v12
	global_load_dwordx2 v[16:17], v[4:5], off glc
	s_waitcnt vmcnt(0)
	global_atomic_cmpswap_x2 v[4:5], v3, v[16:19], s[6:7] offset:24 glc
	s_waitcnt vmcnt(0)
	buffer_invl2
	buffer_wbinvl1_vol
	v_cmp_eq_u64_e32 vcc, v[4:5], v[18:19]
	s_or_b64 s[16:17], vcc, s[16:17]
	s_andn2_b64 exec, exec, s[16:17]
	s_cbranch_execnz .LBB11_300
; %bb.301:                              ;   in Loop: Header=BB11_2 Depth=1
	s_or_b64 exec, exec, s[16:17]
.LBB11_302:                             ;   in Loop: Header=BB11_2 Depth=1
	s_or_b64 exec, exec, s[14:15]
.LBB11_303:                             ;   in Loop: Header=BB11_2 Depth=1
	s_or_b64 exec, exec, s[12:13]
	global_load_dwordx2 v[12:13], v3, s[6:7] offset:40
	global_load_dwordx4 v[16:19], v3, s[6:7]
	v_readfirstlane_b32 s12, v4
	v_readfirstlane_b32 s13, v5
	s_mov_b64 s[14:15], exec
	s_waitcnt vmcnt(1)
	v_readfirstlane_b32 s16, v12
	v_readfirstlane_b32 s17, v13
	s_and_b64 s[16:17], s[12:13], s[16:17]
	s_mul_i32 s18, s17, 24
	s_mul_hi_u32 s19, s16, 24
	s_mul_i32 s20, s16, 24
	s_add_i32 s18, s19, s18
	v_mov_b32_e32 v2, s18
	s_waitcnt vmcnt(0)
	v_add_co_u32_e32 v12, vcc, s20, v16
	v_addc_co_u32_e32 v13, vcc, v17, v2, vcc
	s_and_saveexec_b64 s[18:19], s[0:1]
	s_cbranch_execz .LBB11_305
; %bb.304:                              ;   in Loop: Header=BB11_2 Depth=1
	v_pk_mov_b32 v[4:5], s[14:15], s[14:15] op_sel:[0,1]
	global_store_dwordx4 v[12:13], v[4:7], off offset:8
.LBB11_305:                             ;   in Loop: Header=BB11_2 Depth=1
	s_or_b64 exec, exec, s[18:19]
	s_lshl_b64 s[14:15], s[16:17], 12
	v_mov_b32_e32 v2, s15
	v_add_co_u32_e32 v4, vcc, s14, v18
	v_addc_co_u32_e32 v5, vcc, v19, v2, vcc
	v_pk_mov_b32 v[20:21], s[10:11], s[10:11] op_sel:[0,1]
	v_and_or_b32 v0, v0, s27, 32
	v_mov_b32_e32 v2, v14
	v_readfirstlane_b32 s14, v4
	v_readfirstlane_b32 s15, v5
	v_pk_mov_b32 v[18:19], s[8:9], s[8:9] op_sel:[0,1]
	s_nop 3
	global_store_dwordx4 v37, v[0:3], s[14:15]
	global_store_dwordx4 v37, v[18:21], s[14:15] offset:16
	global_store_dwordx4 v37, v[18:21], s[14:15] offset:32
	;; [unrolled: 1-line block ×3, first 2 shown]
	s_and_saveexec_b64 s[14:15], s[0:1]
	s_cbranch_execz .LBB11_313
; %bb.306:                              ;   in Loop: Header=BB11_2 Depth=1
	global_load_dwordx2 v[20:21], v3, s[6:7] offset:32 glc
	global_load_dwordx2 v[0:1], v3, s[6:7] offset:40
	v_mov_b32_e32 v18, s12
	v_mov_b32_e32 v19, s13
	s_waitcnt vmcnt(0)
	v_readfirstlane_b32 s16, v0
	v_readfirstlane_b32 s17, v1
	s_and_b64 s[16:17], s[16:17], s[12:13]
	s_mul_i32 s17, s17, 24
	s_mul_hi_u32 s18, s16, 24
	s_mul_i32 s16, s16, 24
	s_add_i32 s17, s18, s17
	v_mov_b32_e32 v1, s17
	v_add_co_u32_e32 v0, vcc, s16, v16
	v_addc_co_u32_e32 v1, vcc, v17, v1, vcc
	global_store_dwordx2 v[0:1], v[20:21], off
	buffer_wbl2
	s_waitcnt vmcnt(0)
	global_atomic_cmpswap_x2 v[18:19], v3, v[18:21], s[6:7] offset:32 glc
	s_waitcnt vmcnt(0)
	v_cmp_ne_u64_e32 vcc, v[18:19], v[20:21]
	s_and_saveexec_b64 s[16:17], vcc
	s_cbranch_execz .LBB11_309
; %bb.307:                              ;   in Loop: Header=BB11_2 Depth=1
	s_mov_b64 s[18:19], 0
.LBB11_308:                             ;   Parent Loop BB11_2 Depth=1
                                        ; =>  This Inner Loop Header: Depth=2
	s_sleep 1
	global_store_dwordx2 v[0:1], v[18:19], off
	v_mov_b32_e32 v16, s12
	v_mov_b32_e32 v17, s13
	buffer_wbl2
	s_waitcnt vmcnt(0)
	global_atomic_cmpswap_x2 v[16:17], v3, v[16:19], s[6:7] offset:32 glc
	s_waitcnt vmcnt(0)
	v_cmp_eq_u64_e32 vcc, v[16:17], v[18:19]
	s_or_b64 s[18:19], vcc, s[18:19]
	v_pk_mov_b32 v[18:19], v[16:17], v[16:17] op_sel:[0,1]
	s_andn2_b64 exec, exec, s[18:19]
	s_cbranch_execnz .LBB11_308
.LBB11_309:                             ;   in Loop: Header=BB11_2 Depth=1
	s_or_b64 exec, exec, s[16:17]
	global_load_dwordx2 v[0:1], v3, s[6:7] offset:16
	s_mov_b64 s[18:19], exec
	v_mbcnt_lo_u32_b32 v2, s18, 0
	v_mbcnt_hi_u32_b32 v2, s19, v2
	v_cmp_eq_u32_e32 vcc, 0, v2
	s_and_saveexec_b64 s[16:17], vcc
	s_cbranch_execz .LBB11_311
; %bb.310:                              ;   in Loop: Header=BB11_2 Depth=1
	s_bcnt1_i32_b64 s18, s[18:19]
	v_mov_b32_e32 v2, s18
	buffer_wbl2
	s_waitcnt vmcnt(0)
	global_atomic_add_x2 v[0:1], v[2:3], off offset:8
.LBB11_311:                             ;   in Loop: Header=BB11_2 Depth=1
	s_or_b64 exec, exec, s[16:17]
	s_waitcnt vmcnt(0)
	global_load_dwordx2 v[16:17], v[0:1], off offset:16
	s_waitcnt vmcnt(0)
	v_cmp_eq_u64_e32 vcc, 0, v[16:17]
	s_cbranch_vccnz .LBB11_313
; %bb.312:                              ;   in Loop: Header=BB11_2 Depth=1
	global_load_dword v2, v[0:1], off offset:24
	s_waitcnt vmcnt(0)
	v_and_b32_e32 v0, 0xffffff, v2
	v_readfirstlane_b32 m0, v0
	buffer_wbl2
	global_store_dwordx2 v[16:17], v[2:3], off
	s_sendmsg sendmsg(MSG_INTERRUPT)
.LBB11_313:                             ;   in Loop: Header=BB11_2 Depth=1
	s_or_b64 exec, exec, s[14:15]
	v_add_co_u32_e32 v0, vcc, v4, v37
	v_addc_co_u32_e32 v1, vcc, 0, v5, vcc
	s_branch .LBB11_317
.LBB11_314:                             ;   in Loop: Header=BB11_317 Depth=2
	s_or_b64 exec, exec, s[14:15]
	v_readfirstlane_b32 s14, v2
	s_cmp_eq_u32 s14, 0
	s_cbranch_scc1 .LBB11_316
; %bb.315:                              ;   in Loop: Header=BB11_317 Depth=2
	s_sleep 1
	s_cbranch_execnz .LBB11_317
	s_branch .LBB11_319
.LBB11_316:                             ;   in Loop: Header=BB11_2 Depth=1
	s_branch .LBB11_319
.LBB11_317:                             ;   Parent Loop BB11_2 Depth=1
                                        ; =>  This Inner Loop Header: Depth=2
	v_mov_b32_e32 v2, 1
	s_and_saveexec_b64 s[14:15], s[0:1]
	s_cbranch_execz .LBB11_314
; %bb.318:                              ;   in Loop: Header=BB11_317 Depth=2
	global_load_dword v2, v[12:13], off offset:20 glc
	s_waitcnt vmcnt(0)
	buffer_invl2
	buffer_wbinvl1_vol
	v_and_b32_e32 v2, 1, v2
	s_branch .LBB11_314
.LBB11_319:                             ;   in Loop: Header=BB11_2 Depth=1
	global_load_dwordx2 v[0:1], v[0:1], off
	s_and_saveexec_b64 s[14:15], s[0:1]
	s_cbranch_execz .LBB11_323
; %bb.320:                              ;   in Loop: Header=BB11_2 Depth=1
	global_load_dwordx2 v[4:5], v3, s[6:7] offset:40
	global_load_dwordx2 v[12:13], v3, s[6:7] offset:24 glc
	global_load_dwordx2 v[20:21], v3, s[6:7]
	v_mov_b32_e32 v2, s13
	s_waitcnt vmcnt(2)
	v_add_co_u32_e32 v14, vcc, 1, v4
	v_addc_co_u32_e32 v19, vcc, 0, v5, vcc
	v_add_co_u32_e32 v16, vcc, s12, v14
	v_addc_co_u32_e32 v17, vcc, v19, v2, vcc
	v_cmp_eq_u64_e32 vcc, 0, v[16:17]
	v_cndmask_b32_e32 v17, v17, v19, vcc
	v_cndmask_b32_e32 v16, v16, v14, vcc
	v_and_b32_e32 v2, v17, v5
	v_and_b32_e32 v4, v16, v4
	v_mul_lo_u32 v2, v2, 24
	v_mul_hi_u32 v5, v4, 24
	v_mul_lo_u32 v4, v4, 24
	v_add_u32_e32 v2, v5, v2
	s_waitcnt vmcnt(0)
	v_add_co_u32_e32 v4, vcc, v20, v4
	v_addc_co_u32_e32 v5, vcc, v21, v2, vcc
	v_mov_b32_e32 v18, v12
	global_store_dwordx2 v[4:5], v[12:13], off
	v_mov_b32_e32 v19, v13
	buffer_wbl2
	s_waitcnt vmcnt(0)
	global_atomic_cmpswap_x2 v[18:19], v3, v[16:19], s[6:7] offset:24 glc
	s_waitcnt vmcnt(0)
	v_cmp_ne_u64_e32 vcc, v[18:19], v[12:13]
	s_and_b64 exec, exec, vcc
	s_cbranch_execz .LBB11_323
; %bb.321:                              ;   in Loop: Header=BB11_2 Depth=1
	s_mov_b64 s[0:1], 0
.LBB11_322:                             ;   Parent Loop BB11_2 Depth=1
                                        ; =>  This Inner Loop Header: Depth=2
	s_sleep 1
	global_store_dwordx2 v[4:5], v[18:19], off
	buffer_wbl2
	s_waitcnt vmcnt(0)
	global_atomic_cmpswap_x2 v[12:13], v3, v[16:19], s[6:7] offset:24 glc
	s_waitcnt vmcnt(0)
	v_cmp_eq_u64_e32 vcc, v[12:13], v[18:19]
	s_or_b64 s[0:1], vcc, s[0:1]
	v_pk_mov_b32 v[18:19], v[12:13], v[12:13] op_sel:[0,1]
	s_andn2_b64 exec, exec, s[0:1]
	s_cbranch_execnz .LBB11_322
.LBB11_323:                             ;   in Loop: Header=BB11_2 Depth=1
	s_or_b64 exec, exec, s[14:15]
	v_readfirstlane_b32 s0, v36
	v_cmp_eq_u32_e64 s[0:1], s0, v36
	v_pk_mov_b32 v[4:5], 0, 0
	s_and_saveexec_b64 s[12:13], s[0:1]
	s_cbranch_execz .LBB11_329
; %bb.324:                              ;   in Loop: Header=BB11_2 Depth=1
	global_load_dwordx2 v[18:19], v3, s[6:7] offset:24 glc
	s_waitcnt vmcnt(0)
	buffer_invl2
	buffer_wbinvl1_vol
	global_load_dwordx2 v[4:5], v3, s[6:7] offset:40
	global_load_dwordx2 v[12:13], v3, s[6:7]
	s_waitcnt vmcnt(1)
	v_and_b32_e32 v2, v4, v18
	v_and_b32_e32 v4, v5, v19
	v_mul_lo_u32 v4, v4, 24
	v_mul_hi_u32 v5, v2, 24
	v_mul_lo_u32 v2, v2, 24
	v_add_u32_e32 v5, v5, v4
	s_waitcnt vmcnt(0)
	v_add_co_u32_e32 v4, vcc, v12, v2
	v_addc_co_u32_e32 v5, vcc, v13, v5, vcc
	global_load_dwordx2 v[16:17], v[4:5], off glc
	s_waitcnt vmcnt(0)
	global_atomic_cmpswap_x2 v[4:5], v3, v[16:19], s[6:7] offset:24 glc
	s_waitcnt vmcnt(0)
	buffer_invl2
	buffer_wbinvl1_vol
	v_cmp_ne_u64_e32 vcc, v[4:5], v[18:19]
	s_and_saveexec_b64 s[14:15], vcc
	s_cbranch_execz .LBB11_328
; %bb.325:                              ;   in Loop: Header=BB11_2 Depth=1
	s_mov_b64 s[16:17], 0
.LBB11_326:                             ;   Parent Loop BB11_2 Depth=1
                                        ; =>  This Inner Loop Header: Depth=2
	s_sleep 1
	global_load_dwordx2 v[12:13], v3, s[6:7] offset:40
	global_load_dwordx2 v[16:17], v3, s[6:7]
	v_pk_mov_b32 v[18:19], v[4:5], v[4:5] op_sel:[0,1]
	s_waitcnt vmcnt(1)
	v_and_b32_e32 v2, v12, v18
	s_waitcnt vmcnt(0)
	v_mad_u64_u32 v[4:5], s[18:19], v2, 24, v[16:17]
	v_and_b32_e32 v13, v13, v19
	v_mov_b32_e32 v2, v5
	v_mad_u64_u32 v[12:13], s[18:19], v13, 24, v[2:3]
	v_mov_b32_e32 v5, v12
	global_load_dwordx2 v[16:17], v[4:5], off glc
	s_waitcnt vmcnt(0)
	global_atomic_cmpswap_x2 v[4:5], v3, v[16:19], s[6:7] offset:24 glc
	s_waitcnt vmcnt(0)
	buffer_invl2
	buffer_wbinvl1_vol
	v_cmp_eq_u64_e32 vcc, v[4:5], v[18:19]
	s_or_b64 s[16:17], vcc, s[16:17]
	s_andn2_b64 exec, exec, s[16:17]
	s_cbranch_execnz .LBB11_326
; %bb.327:                              ;   in Loop: Header=BB11_2 Depth=1
	s_or_b64 exec, exec, s[16:17]
.LBB11_328:                             ;   in Loop: Header=BB11_2 Depth=1
	s_or_b64 exec, exec, s[14:15]
.LBB11_329:                             ;   in Loop: Header=BB11_2 Depth=1
	s_or_b64 exec, exec, s[12:13]
	global_load_dwordx2 v[12:13], v3, s[6:7] offset:40
	global_load_dwordx4 v[16:19], v3, s[6:7]
	v_readfirstlane_b32 s12, v4
	v_readfirstlane_b32 s13, v5
	s_mov_b64 s[14:15], exec
	s_waitcnt vmcnt(1)
	v_readfirstlane_b32 s16, v12
	v_readfirstlane_b32 s17, v13
	s_and_b64 s[16:17], s[12:13], s[16:17]
	s_mul_i32 s18, s17, 24
	s_mul_hi_u32 s19, s16, 24
	s_mul_i32 s20, s16, 24
	s_add_i32 s18, s19, s18
	v_mov_b32_e32 v2, s18
	s_waitcnt vmcnt(0)
	v_add_co_u32_e32 v20, vcc, s20, v16
	v_addc_co_u32_e32 v21, vcc, v17, v2, vcc
	s_and_saveexec_b64 s[18:19], s[0:1]
	s_cbranch_execz .LBB11_331
; %bb.330:                              ;   in Loop: Header=BB11_2 Depth=1
	v_pk_mov_b32 v[4:5], s[14:15], s[14:15] op_sel:[0,1]
	global_store_dwordx4 v[20:21], v[4:7], off offset:8
.LBB11_331:                             ;   in Loop: Header=BB11_2 Depth=1
	s_or_b64 exec, exec, s[18:19]
	s_lshl_b64 s[14:15], s[16:17], 12
	v_mov_b32_e32 v2, s15
	v_add_co_u32_e32 v4, vcc, s14, v18
	v_addc_co_u32_e32 v5, vcc, v19, v2, vcc
	v_mov_b32_e32 v2, v15
	v_pk_mov_b32 v[14:15], s[10:11], s[10:11] op_sel:[0,1]
	v_and_or_b32 v0, v0, s28, 34
	v_readfirstlane_b32 s14, v4
	v_readfirstlane_b32 s15, v5
	v_pk_mov_b32 v[12:13], s[8:9], s[8:9] op_sel:[0,1]
	s_nop 3
	global_store_dwordx4 v37, v[0:3], s[14:15]
	global_store_dwordx4 v37, v[12:15], s[14:15] offset:16
	global_store_dwordx4 v37, v[12:15], s[14:15] offset:32
	;; [unrolled: 1-line block ×3, first 2 shown]
	s_and_saveexec_b64 s[14:15], s[0:1]
	s_cbranch_execz .LBB11_339
; %bb.332:                              ;   in Loop: Header=BB11_2 Depth=1
	global_load_dwordx2 v[24:25], v3, s[6:7] offset:32 glc
	global_load_dwordx2 v[0:1], v3, s[6:7] offset:40
	v_mov_b32_e32 v22, s12
	v_mov_b32_e32 v23, s13
	s_waitcnt vmcnt(0)
	v_readfirstlane_b32 s16, v0
	v_readfirstlane_b32 s17, v1
	s_and_b64 s[16:17], s[16:17], s[12:13]
	s_mul_i32 s17, s17, 24
	s_mul_hi_u32 s18, s16, 24
	s_mul_i32 s16, s16, 24
	s_add_i32 s17, s18, s17
	v_mov_b32_e32 v1, s17
	v_add_co_u32_e32 v0, vcc, s16, v16
	v_addc_co_u32_e32 v1, vcc, v17, v1, vcc
	global_store_dwordx2 v[0:1], v[24:25], off
	buffer_wbl2
	s_waitcnt vmcnt(0)
	global_atomic_cmpswap_x2 v[14:15], v3, v[22:25], s[6:7] offset:32 glc
	s_waitcnt vmcnt(0)
	v_cmp_ne_u64_e32 vcc, v[14:15], v[24:25]
	s_and_saveexec_b64 s[16:17], vcc
	s_cbranch_execz .LBB11_335
; %bb.333:                              ;   in Loop: Header=BB11_2 Depth=1
	s_mov_b64 s[18:19], 0
.LBB11_334:                             ;   Parent Loop BB11_2 Depth=1
                                        ; =>  This Inner Loop Header: Depth=2
	s_sleep 1
	global_store_dwordx2 v[0:1], v[14:15], off
	v_mov_b32_e32 v12, s12
	v_mov_b32_e32 v13, s13
	buffer_wbl2
	s_waitcnt vmcnt(0)
	global_atomic_cmpswap_x2 v[4:5], v3, v[12:15], s[6:7] offset:32 glc
	s_waitcnt vmcnt(0)
	v_cmp_eq_u64_e32 vcc, v[4:5], v[14:15]
	s_or_b64 s[18:19], vcc, s[18:19]
	v_pk_mov_b32 v[14:15], v[4:5], v[4:5] op_sel:[0,1]
	s_andn2_b64 exec, exec, s[18:19]
	s_cbranch_execnz .LBB11_334
.LBB11_335:                             ;   in Loop: Header=BB11_2 Depth=1
	s_or_b64 exec, exec, s[16:17]
	global_load_dwordx2 v[0:1], v3, s[6:7] offset:16
	s_mov_b64 s[18:19], exec
	v_mbcnt_lo_u32_b32 v2, s18, 0
	v_mbcnt_hi_u32_b32 v2, s19, v2
	v_cmp_eq_u32_e32 vcc, 0, v2
	s_and_saveexec_b64 s[16:17], vcc
	s_cbranch_execz .LBB11_337
; %bb.336:                              ;   in Loop: Header=BB11_2 Depth=1
	s_bcnt1_i32_b64 s18, s[18:19]
	v_mov_b32_e32 v2, s18
	buffer_wbl2
	s_waitcnt vmcnt(0)
	global_atomic_add_x2 v[0:1], v[2:3], off offset:8
.LBB11_337:                             ;   in Loop: Header=BB11_2 Depth=1
	s_or_b64 exec, exec, s[16:17]
	s_waitcnt vmcnt(0)
	global_load_dwordx2 v[4:5], v[0:1], off offset:16
	s_waitcnt vmcnt(0)
	v_cmp_eq_u64_e32 vcc, 0, v[4:5]
	s_cbranch_vccnz .LBB11_339
; %bb.338:                              ;   in Loop: Header=BB11_2 Depth=1
	global_load_dword v2, v[0:1], off offset:24
	s_waitcnt vmcnt(0)
	v_and_b32_e32 v0, 0xffffff, v2
	v_readfirstlane_b32 m0, v0
	buffer_wbl2
	global_store_dwordx2 v[4:5], v[2:3], off
	s_sendmsg sendmsg(MSG_INTERRUPT)
.LBB11_339:                             ;   in Loop: Header=BB11_2 Depth=1
	s_or_b64 exec, exec, s[14:15]
	s_branch .LBB11_343
.LBB11_340:                             ;   in Loop: Header=BB11_343 Depth=2
	s_or_b64 exec, exec, s[14:15]
	v_readfirstlane_b32 s14, v0
	s_cmp_eq_u32 s14, 0
	s_cbranch_scc1 .LBB11_342
; %bb.341:                              ;   in Loop: Header=BB11_343 Depth=2
	s_sleep 1
	s_cbranch_execnz .LBB11_343
	s_branch .LBB11_345
.LBB11_342:                             ;   in Loop: Header=BB11_2 Depth=1
	s_branch .LBB11_345
.LBB11_343:                             ;   Parent Loop BB11_2 Depth=1
                                        ; =>  This Inner Loop Header: Depth=2
	v_mov_b32_e32 v0, 1
	s_and_saveexec_b64 s[14:15], s[0:1]
	s_cbranch_execz .LBB11_340
; %bb.344:                              ;   in Loop: Header=BB11_343 Depth=2
	global_load_dword v0, v[20:21], off offset:20 glc
	s_waitcnt vmcnt(0)
	buffer_invl2
	buffer_wbinvl1_vol
	v_and_b32_e32 v0, 1, v0
	s_branch .LBB11_340
.LBB11_345:                             ;   in Loop: Header=BB11_2 Depth=1
	s_and_saveexec_b64 s[14:15], s[0:1]
	s_cbranch_execz .LBB11_1
; %bb.346:                              ;   in Loop: Header=BB11_2 Depth=1
	global_load_dwordx2 v[0:1], v3, s[6:7] offset:40
	global_load_dwordx2 v[4:5], v3, s[6:7] offset:24 glc
	global_load_dwordx2 v[16:17], v3, s[6:7]
	v_mov_b32_e32 v2, s13
	s_waitcnt vmcnt(2)
	v_add_co_u32_e32 v15, vcc, 1, v0
	v_addc_co_u32_e32 v18, vcc, 0, v1, vcc
	v_add_co_u32_e32 v12, vcc, s12, v15
	v_addc_co_u32_e32 v13, vcc, v18, v2, vcc
	v_cmp_eq_u64_e32 vcc, 0, v[12:13]
	v_cndmask_b32_e32 v13, v13, v18, vcc
	v_cndmask_b32_e32 v12, v12, v15, vcc
	v_and_b32_e32 v1, v13, v1
	v_and_b32_e32 v0, v12, v0
	v_mul_lo_u32 v1, v1, 24
	v_mul_hi_u32 v2, v0, 24
	v_mul_lo_u32 v0, v0, 24
	v_add_u32_e32 v1, v2, v1
	s_waitcnt vmcnt(0)
	v_add_co_u32_e32 v0, vcc, v16, v0
	v_addc_co_u32_e32 v1, vcc, v17, v1, vcc
	v_mov_b32_e32 v14, v4
	global_store_dwordx2 v[0:1], v[4:5], off
	v_mov_b32_e32 v15, v5
	buffer_wbl2
	s_waitcnt vmcnt(0)
	global_atomic_cmpswap_x2 v[14:15], v3, v[12:15], s[6:7] offset:24 glc
	s_waitcnt vmcnt(0)
	v_cmp_ne_u64_e32 vcc, v[14:15], v[4:5]
	s_and_b64 exec, exec, vcc
	s_cbranch_execz .LBB11_1
; %bb.347:                              ;   in Loop: Header=BB11_2 Depth=1
	s_mov_b64 s[0:1], 0
.LBB11_348:                             ;   Parent Loop BB11_2 Depth=1
                                        ; =>  This Inner Loop Header: Depth=2
	s_sleep 1
	global_store_dwordx2 v[0:1], v[14:15], off
	buffer_wbl2
	s_waitcnt vmcnt(0)
	global_atomic_cmpswap_x2 v[4:5], v3, v[12:15], s[6:7] offset:24 glc
	s_waitcnt vmcnt(0)
	v_cmp_eq_u64_e32 vcc, v[4:5], v[14:15]
	s_or_b64 s[0:1], vcc, s[0:1]
	v_pk_mov_b32 v[14:15], v[4:5], v[4:5] op_sel:[0,1]
	s_andn2_b64 exec, exec, s[0:1]
	s_cbranch_execnz .LBB11_348
	s_branch .LBB11_1
.LBB11_349:
	s_endpgm
	.section	.rodata,"a",@progbits
	.p2align	6, 0x0
	.amdhsa_kernel _Z9printCutsiPN2rw3CutE
		.amdhsa_group_segment_fixed_size 0
		.amdhsa_private_segment_fixed_size 0
		.amdhsa_kernarg_size 272
		.amdhsa_user_sgpr_count 6
		.amdhsa_user_sgpr_private_segment_buffer 1
		.amdhsa_user_sgpr_dispatch_ptr 0
		.amdhsa_user_sgpr_queue_ptr 0
		.amdhsa_user_sgpr_kernarg_segment_ptr 1
		.amdhsa_user_sgpr_dispatch_id 0
		.amdhsa_user_sgpr_flat_scratch_init 0
		.amdhsa_user_sgpr_kernarg_preload_length 0
		.amdhsa_user_sgpr_kernarg_preload_offset 0
		.amdhsa_user_sgpr_private_segment_size 0
		.amdhsa_uses_dynamic_stack 0
		.amdhsa_system_sgpr_private_segment_wavefront_offset 0
		.amdhsa_system_sgpr_workgroup_id_x 1
		.amdhsa_system_sgpr_workgroup_id_y 0
		.amdhsa_system_sgpr_workgroup_id_z 0
		.amdhsa_system_sgpr_workgroup_info 0
		.amdhsa_system_vgpr_workitem_id 0
		.amdhsa_next_free_vgpr 43
		.amdhsa_next_free_sgpr 31
		.amdhsa_accum_offset 44
		.amdhsa_reserve_vcc 1
		.amdhsa_reserve_flat_scratch 0
		.amdhsa_float_round_mode_32 0
		.amdhsa_float_round_mode_16_64 0
		.amdhsa_float_denorm_mode_32 3
		.amdhsa_float_denorm_mode_16_64 3
		.amdhsa_dx10_clamp 1
		.amdhsa_ieee_mode 1
		.amdhsa_fp16_overflow 0
		.amdhsa_tg_split 0
		.amdhsa_exception_fp_ieee_invalid_op 0
		.amdhsa_exception_fp_denorm_src 0
		.amdhsa_exception_fp_ieee_div_zero 0
		.amdhsa_exception_fp_ieee_overflow 0
		.amdhsa_exception_fp_ieee_underflow 0
		.amdhsa_exception_fp_ieee_inexact 0
		.amdhsa_exception_int_div_zero 0
	.end_amdhsa_kernel
	.text
.Lfunc_end11:
	.size	_Z9printCutsiPN2rw3CutE, .Lfunc_end11-_Z9printCutsiPN2rw3CutE
                                        ; -- End function
	.section	.AMDGPU.csdata,"",@progbits
; Kernel info:
; codeLenInByte = 14368
; NumSgprs: 35
; NumVgprs: 43
; NumAgprs: 0
; TotalNumVgprs: 43
; ScratchSize: 0
; MemoryBound: 0
; FloatMode: 240
; IeeeMode: 1
; LDSByteSize: 0 bytes/workgroup (compile time only)
; SGPRBlocks: 4
; VGPRBlocks: 5
; NumSGPRsForWavesPerEU: 35
; NumVGPRsForWavesPerEU: 43
; AccumOffset: 44
; Occupancy: 8
; WaveLimiterHint : 1
; COMPUTE_PGM_RSRC2:SCRATCH_EN: 0
; COMPUTE_PGM_RSRC2:USER_SGPR: 6
; COMPUTE_PGM_RSRC2:TRAP_HANDLER: 0
; COMPUTE_PGM_RSRC2:TGID_X_EN: 1
; COMPUTE_PGM_RSRC2:TGID_Y_EN: 0
; COMPUTE_PGM_RSRC2:TGID_Z_EN: 0
; COMPUTE_PGM_RSRC2:TIDIG_COMP_CNT: 0
; COMPUTE_PGM_RSRC3_GFX90A:ACCUM_OFFSET: 10
; COMPUTE_PGM_RSRC3_GFX90A:TG_SPLIT: 0
	.text
	.protected	_Z7ConvertPiS_i         ; -- Begin function _Z7ConvertPiS_i
	.globl	_Z7ConvertPiS_i
	.p2align	8
	.type	_Z7ConvertPiS_i,@function
_Z7ConvertPiS_i:                        ; @_Z7ConvertPiS_i
; %bb.0:
	s_load_dword s0, s[4:5], 0x24
	s_load_dword s1, s[4:5], 0x10
	s_waitcnt lgkmcnt(0)
	s_and_b32 s0, s0, 0xffff
	s_mul_i32 s6, s6, s0
	v_add_u32_e32 v0, s6, v0
	v_cmp_gt_i32_e32 vcc, s1, v0
	s_and_saveexec_b64 s[0:1], vcc
	s_cbranch_execz .LBB12_2
; %bb.1:
	s_load_dwordx4 s[0:3], s[4:5], 0x0
	v_ashrrev_i32_e32 v1, 31, v0
	v_lshlrev_b64 v[0:1], 2, v[0:1]
	s_waitcnt lgkmcnt(0)
	v_mov_b32_e32 v3, s1
	v_add_co_u32_e32 v2, vcc, s0, v0
	v_addc_co_u32_e32 v3, vcc, v3, v1, vcc
	global_load_dword v4, v[2:3], off
	v_mov_b32_e32 v5, s3
	v_add_co_u32_e32 v0, vcc, s2, v0
	v_addc_co_u32_e32 v1, vcc, v5, v1, vcc
	s_waitcnt vmcnt(0)
	v_and_b32_e32 v4, 1, v4
	global_store_dword v[0:1], v4, off
	global_load_dword v0, v[2:3], off
	s_waitcnt vmcnt(0)
	v_ashrrev_i32_e32 v0, 1, v0
	global_store_dword v[2:3], v0, off
.LBB12_2:
	s_endpgm
	.section	.rodata,"a",@progbits
	.p2align	6, 0x0
	.amdhsa_kernel _Z7ConvertPiS_i
		.amdhsa_group_segment_fixed_size 0
		.amdhsa_private_segment_fixed_size 0
		.amdhsa_kernarg_size 280
		.amdhsa_user_sgpr_count 6
		.amdhsa_user_sgpr_private_segment_buffer 1
		.amdhsa_user_sgpr_dispatch_ptr 0
		.amdhsa_user_sgpr_queue_ptr 0
		.amdhsa_user_sgpr_kernarg_segment_ptr 1
		.amdhsa_user_sgpr_dispatch_id 0
		.amdhsa_user_sgpr_flat_scratch_init 0
		.amdhsa_user_sgpr_kernarg_preload_length 0
		.amdhsa_user_sgpr_kernarg_preload_offset 0
		.amdhsa_user_sgpr_private_segment_size 0
		.amdhsa_uses_dynamic_stack 0
		.amdhsa_system_sgpr_private_segment_wavefront_offset 0
		.amdhsa_system_sgpr_workgroup_id_x 1
		.amdhsa_system_sgpr_workgroup_id_y 0
		.amdhsa_system_sgpr_workgroup_id_z 0
		.amdhsa_system_sgpr_workgroup_info 0
		.amdhsa_system_vgpr_workitem_id 0
		.amdhsa_next_free_vgpr 6
		.amdhsa_next_free_sgpr 7
		.amdhsa_accum_offset 8
		.amdhsa_reserve_vcc 1
		.amdhsa_reserve_flat_scratch 0
		.amdhsa_float_round_mode_32 0
		.amdhsa_float_round_mode_16_64 0
		.amdhsa_float_denorm_mode_32 3
		.amdhsa_float_denorm_mode_16_64 3
		.amdhsa_dx10_clamp 1
		.amdhsa_ieee_mode 1
		.amdhsa_fp16_overflow 0
		.amdhsa_tg_split 0
		.amdhsa_exception_fp_ieee_invalid_op 0
		.amdhsa_exception_fp_denorm_src 0
		.amdhsa_exception_fp_ieee_div_zero 0
		.amdhsa_exception_fp_ieee_overflow 0
		.amdhsa_exception_fp_ieee_underflow 0
		.amdhsa_exception_fp_ieee_inexact 0
		.amdhsa_exception_int_div_zero 0
	.end_amdhsa_kernel
	.text
.Lfunc_end12:
	.size	_Z7ConvertPiS_i, .Lfunc_end12-_Z7ConvertPiS_i
                                        ; -- End function
	.section	.AMDGPU.csdata,"",@progbits
; Kernel info:
; codeLenInByte = 148
; NumSgprs: 11
; NumVgprs: 6
; NumAgprs: 0
; TotalNumVgprs: 6
; ScratchSize: 0
; MemoryBound: 0
; FloatMode: 240
; IeeeMode: 1
; LDSByteSize: 0 bytes/workgroup (compile time only)
; SGPRBlocks: 1
; VGPRBlocks: 0
; NumSGPRsForWavesPerEU: 11
; NumVGPRsForWavesPerEU: 6
; AccumOffset: 8
; Occupancy: 8
; WaveLimiterHint : 0
; COMPUTE_PGM_RSRC2:SCRATCH_EN: 0
; COMPUTE_PGM_RSRC2:USER_SGPR: 6
; COMPUTE_PGM_RSRC2:TRAP_HANDLER: 0
; COMPUTE_PGM_RSRC2:TGID_X_EN: 1
; COMPUTE_PGM_RSRC2:TGID_Y_EN: 0
; COMPUTE_PGM_RSRC2:TGID_Z_EN: 0
; COMPUTE_PGM_RSRC2:TIDIG_COMP_CNT: 0
; COMPUTE_PGM_RSRC3_GFX90A:ACCUM_OFFSET: 1
; COMPUTE_PGM_RSRC3_GFX90A:TG_SPLIT: 0
	.text
	.protected	_Z6RevertPiS_i          ; -- Begin function _Z6RevertPiS_i
	.globl	_Z6RevertPiS_i
	.p2align	8
	.type	_Z6RevertPiS_i,@function
_Z6RevertPiS_i:                         ; @_Z6RevertPiS_i
; %bb.0:
	s_load_dword s0, s[4:5], 0x24
	s_load_dword s1, s[4:5], 0x10
	s_waitcnt lgkmcnt(0)
	s_and_b32 s0, s0, 0xffff
	s_mul_i32 s6, s6, s0
	v_add_u32_e32 v0, s6, v0
	v_cmp_ge_i32_e32 vcc, s1, v0
	s_and_saveexec_b64 s[0:1], vcc
	s_cbranch_execz .LBB13_2
; %bb.1:
	s_load_dwordx4 s[0:3], s[4:5], 0x0
	v_ashrrev_i32_e32 v1, 31, v0
	v_lshlrev_b64 v[0:1], 2, v[0:1]
	s_waitcnt lgkmcnt(0)
	v_mov_b32_e32 v3, s1
	v_add_co_u32_e32 v2, vcc, s0, v0
	v_addc_co_u32_e32 v3, vcc, v3, v1, vcc
	global_load_dword v4, v[2:3], off
	v_mov_b32_e32 v5, s3
	v_add_co_u32_e32 v0, vcc, s2, v0
	v_addc_co_u32_e32 v1, vcc, v5, v1, vcc
	s_waitcnt vmcnt(0)
	v_lshlrev_b32_e32 v4, 1, v4
	global_store_dword v[2:3], v4, off
	global_load_dword v0, v[0:1], off
	s_waitcnt vmcnt(0)
	v_add_u32_e32 v0, v0, v4
	global_store_dword v[2:3], v0, off
.LBB13_2:
	s_endpgm
	.section	.rodata,"a",@progbits
	.p2align	6, 0x0
	.amdhsa_kernel _Z6RevertPiS_i
		.amdhsa_group_segment_fixed_size 0
		.amdhsa_private_segment_fixed_size 0
		.amdhsa_kernarg_size 280
		.amdhsa_user_sgpr_count 6
		.amdhsa_user_sgpr_private_segment_buffer 1
		.amdhsa_user_sgpr_dispatch_ptr 0
		.amdhsa_user_sgpr_queue_ptr 0
		.amdhsa_user_sgpr_kernarg_segment_ptr 1
		.amdhsa_user_sgpr_dispatch_id 0
		.amdhsa_user_sgpr_flat_scratch_init 0
		.amdhsa_user_sgpr_kernarg_preload_length 0
		.amdhsa_user_sgpr_kernarg_preload_offset 0
		.amdhsa_user_sgpr_private_segment_size 0
		.amdhsa_uses_dynamic_stack 0
		.amdhsa_system_sgpr_private_segment_wavefront_offset 0
		.amdhsa_system_sgpr_workgroup_id_x 1
		.amdhsa_system_sgpr_workgroup_id_y 0
		.amdhsa_system_sgpr_workgroup_id_z 0
		.amdhsa_system_sgpr_workgroup_info 0
		.amdhsa_system_vgpr_workitem_id 0
		.amdhsa_next_free_vgpr 6
		.amdhsa_next_free_sgpr 7
		.amdhsa_accum_offset 8
		.amdhsa_reserve_vcc 1
		.amdhsa_reserve_flat_scratch 0
		.amdhsa_float_round_mode_32 0
		.amdhsa_float_round_mode_16_64 0
		.amdhsa_float_denorm_mode_32 3
		.amdhsa_float_denorm_mode_16_64 3
		.amdhsa_dx10_clamp 1
		.amdhsa_ieee_mode 1
		.amdhsa_fp16_overflow 0
		.amdhsa_tg_split 0
		.amdhsa_exception_fp_ieee_invalid_op 0
		.amdhsa_exception_fp_denorm_src 0
		.amdhsa_exception_fp_ieee_div_zero 0
		.amdhsa_exception_fp_ieee_overflow 0
		.amdhsa_exception_fp_ieee_underflow 0
		.amdhsa_exception_fp_ieee_inexact 0
		.amdhsa_exception_int_div_zero 0
	.end_amdhsa_kernel
	.text
.Lfunc_end13:
	.size	_Z6RevertPiS_i, .Lfunc_end13-_Z6RevertPiS_i
                                        ; -- End function
	.section	.AMDGPU.csdata,"",@progbits
; Kernel info:
; codeLenInByte = 148
; NumSgprs: 11
; NumVgprs: 6
; NumAgprs: 0
; TotalNumVgprs: 6
; ScratchSize: 0
; MemoryBound: 0
; FloatMode: 240
; IeeeMode: 1
; LDSByteSize: 0 bytes/workgroup (compile time only)
; SGPRBlocks: 1
; VGPRBlocks: 0
; NumSGPRsForWavesPerEU: 11
; NumVGPRsForWavesPerEU: 6
; AccumOffset: 8
; Occupancy: 8
; WaveLimiterHint : 0
; COMPUTE_PGM_RSRC2:SCRATCH_EN: 0
; COMPUTE_PGM_RSRC2:USER_SGPR: 6
; COMPUTE_PGM_RSRC2:TRAP_HANDLER: 0
; COMPUTE_PGM_RSRC2:TGID_X_EN: 1
; COMPUTE_PGM_RSRC2:TGID_Y_EN: 0
; COMPUTE_PGM_RSRC2:TGID_Z_EN: 0
; COMPUTE_PGM_RSRC2:TIDIG_COMP_CNT: 0
; COMPUTE_PGM_RSRC3_GFX90A:ACCUM_OFFSET: 1
; COMPUTE_PGM_RSRC3_GFX90A:TG_SPLIT: 0
	.text
	.protected	_Z5printiPN2rw3CutEPi   ; -- Begin function _Z5printiPN2rw3CutEPi
	.globl	_Z5printiPN2rw3CutEPi
	.p2align	8
	.type	_Z5printiPN2rw3CutEPi,@function
_Z5printiPN2rw3CutEPi:                  ; @_Z5printiPN2rw3CutEPi
; %bb.0:
	s_load_dword s26, s[4:5], 0x0
	s_mov_b32 s27, 1
	s_waitcnt lgkmcnt(0)
	s_cmp_lt_i32 s26, 1
	s_cbranch_scc1 .LBB14_222
; %bb.1:
	s_load_dwordx2 s[2:3], s[4:5], 0x8
	s_add_u32 s8, s4, 24
	s_addc_u32 s9, s5, 0
	s_getpc_b64 s[0:1]
	s_add_u32 s0, s0, .str.4@rel32@lo+4
	s_addc_u32 s1, s1, .str.4@rel32@hi+12
	v_mbcnt_lo_u32_b32 v0, -1, 0
	s_cmp_lg_u64 s[0:1], 0
	v_mbcnt_hi_u32_b32 v36, -1, v0
	s_cselect_b64 s[10:11], -1, 0
	s_mov_b32 s4, 0
	v_mov_b32_e32 v3, 0
	s_movk_i32 s28, 0xff1f
	s_movk_i32 s29, 0xff1d
	v_mov_b32_e32 v6, 2
	v_mov_b32_e32 v7, 1
	v_lshlrev_b32_e32 v37, 6, v36
	v_mov_b32_e32 v0, 33
	s_branch .LBB14_4
.LBB14_2:                               ;   in Loop: Header=BB14_4 Depth=1
	s_or_b64 exec, exec, s[6:7]
.LBB14_3:                               ;   in Loop: Header=BB14_4 Depth=1
	s_add_i32 s0, s27, 1
	s_cmp_eq_u32 s27, s26
	s_mov_b32 s27, s0
	s_cbranch_scc1 .LBB14_222
.LBB14_4:                               ; =>This Loop Header: Depth=1
                                        ;     Child Loop BB14_8 Depth 2
                                        ;     Child Loop BB14_16 Depth 2
                                        ;     Child Loop BB14_25 Depth 2
                                        ;     Child Loop BB14_30 Depth 2
                                        ;     Child Loop BB14_120 Depth 2
                                        ;     Child Loop BB14_128 Depth 2
                                        ;     Child Loop BB14_137 Depth 2
                                        ;     Child Loop BB14_142 Depth 2
                                        ;     Child Loop BB14_34 Depth 2
                                        ;       Child Loop BB14_37 Depth 3
                                        ;       Child Loop BB14_44 Depth 3
	;; [unrolled: 1-line block ×11, first 2 shown]
                                        ;     Child Loop BB14_147 Depth 2
                                        ;     Child Loop BB14_155 Depth 2
	;; [unrolled: 1-line block ×12, first 2 shown]
	s_mul_i32 s0, s27, 28
	s_mul_hi_u32 s1, s27, 28
	s_waitcnt lgkmcnt(0)
	s_add_u32 s0, s2, s0
	s_addc_u32 s1, s3, s1
	global_load_ubyte v1, v3, s[0:1] offset:24
	s_waitcnt vmcnt(0)
	v_cmp_eq_u32_e32 vcc, 0, v1
	s_cbranch_vccnz .LBB14_3
; %bb.5:                                ;   in Loop: Header=BB14_4 Depth=1
	global_load_dword v11, v3, s[0:1] offset:20
	global_load_dword v10, v3, s[0:1]
	s_load_dwordx2 s[12:13], s[8:9], 0x50
	v_readfirstlane_b32 s0, v36
	v_cmp_eq_u32_e64 s[0:1], s0, v36
	v_pk_mov_b32 v[4:5], 0, 0
	s_and_saveexec_b64 s[6:7], s[0:1]
	s_cbranch_execz .LBB14_11
; %bb.6:                                ;   in Loop: Header=BB14_4 Depth=1
	s_waitcnt lgkmcnt(0)
	global_load_dwordx2 v[14:15], v3, s[12:13] offset:24 glc
	s_waitcnt vmcnt(0)
	buffer_invl2
	buffer_wbinvl1_vol
	global_load_dwordx2 v[4:5], v3, s[12:13] offset:40
	global_load_dwordx2 v[8:9], v3, s[12:13]
	s_waitcnt vmcnt(1)
	v_and_b32_e32 v1, v4, v14
	v_and_b32_e32 v2, v5, v15
	v_mul_lo_u32 v2, v2, 24
	v_mul_hi_u32 v4, v1, 24
	v_mul_lo_u32 v1, v1, 24
	v_add_u32_e32 v2, v4, v2
	s_waitcnt vmcnt(0)
	v_add_co_u32_e32 v4, vcc, v8, v1
	v_addc_co_u32_e32 v5, vcc, v9, v2, vcc
	global_load_dwordx2 v[12:13], v[4:5], off glc
	s_waitcnt vmcnt(0)
	global_atomic_cmpswap_x2 v[4:5], v3, v[12:15], s[12:13] offset:24 glc
	s_waitcnt vmcnt(0)
	buffer_invl2
	buffer_wbinvl1_vol
	v_cmp_ne_u64_e32 vcc, v[4:5], v[14:15]
	s_and_saveexec_b64 s[14:15], vcc
	s_cbranch_execz .LBB14_10
; %bb.7:                                ;   in Loop: Header=BB14_4 Depth=1
	s_mov_b64 s[16:17], 0
.LBB14_8:                               ;   Parent Loop BB14_4 Depth=1
                                        ; =>  This Inner Loop Header: Depth=2
	s_sleep 1
	global_load_dwordx2 v[8:9], v3, s[12:13] offset:40
	global_load_dwordx2 v[12:13], v3, s[12:13]
	v_pk_mov_b32 v[14:15], v[4:5], v[4:5] op_sel:[0,1]
	s_waitcnt vmcnt(1)
	v_and_b32_e32 v2, v8, v14
	s_waitcnt vmcnt(0)
	v_mad_u64_u32 v[4:5], s[18:19], v2, 24, v[12:13]
	v_and_b32_e32 v1, v9, v15
	v_mov_b32_e32 v2, v5
	v_mad_u64_u32 v[8:9], s[18:19], v1, 24, v[2:3]
	v_mov_b32_e32 v5, v8
	global_load_dwordx2 v[12:13], v[4:5], off glc
	s_waitcnt vmcnt(0)
	global_atomic_cmpswap_x2 v[4:5], v3, v[12:15], s[12:13] offset:24 glc
	s_waitcnt vmcnt(0)
	buffer_invl2
	buffer_wbinvl1_vol
	v_cmp_eq_u64_e32 vcc, v[4:5], v[14:15]
	s_or_b64 s[16:17], vcc, s[16:17]
	s_andn2_b64 exec, exec, s[16:17]
	s_cbranch_execnz .LBB14_8
; %bb.9:                                ;   in Loop: Header=BB14_4 Depth=1
	s_or_b64 exec, exec, s[16:17]
.LBB14_10:                              ;   in Loop: Header=BB14_4 Depth=1
	s_or_b64 exec, exec, s[14:15]
.LBB14_11:                              ;   in Loop: Header=BB14_4 Depth=1
	s_or_b64 exec, exec, s[6:7]
	s_waitcnt lgkmcnt(0)
	global_load_dwordx2 v[8:9], v3, s[12:13] offset:40
	global_load_dwordx4 v[12:15], v3, s[12:13]
	v_readfirstlane_b32 s14, v4
	v_readfirstlane_b32 s15, v5
	s_mov_b64 s[6:7], exec
	s_waitcnt vmcnt(1)
	v_readfirstlane_b32 s16, v8
	v_readfirstlane_b32 s17, v9
	s_and_b64 s[16:17], s[14:15], s[16:17]
	s_mul_i32 s5, s17, 24
	s_mul_hi_u32 s18, s16, 24
	s_mul_i32 s19, s16, 24
	s_add_i32 s5, s18, s5
	v_mov_b32_e32 v1, s5
	s_waitcnt vmcnt(0)
	v_add_co_u32_e32 v8, vcc, s19, v12
	v_addc_co_u32_e32 v9, vcc, v13, v1, vcc
	s_and_saveexec_b64 s[18:19], s[0:1]
	s_cbranch_execz .LBB14_13
; %bb.12:                               ;   in Loop: Header=BB14_4 Depth=1
	v_pk_mov_b32 v[4:5], s[6:7], s[6:7] op_sel:[0,1]
	global_store_dwordx4 v[8:9], v[4:7], off offset:8
.LBB14_13:                              ;   in Loop: Header=BB14_4 Depth=1
	s_or_b64 exec, exec, s[18:19]
	s_lshl_b64 s[6:7], s[16:17], 12
	v_mov_b32_e32 v1, s7
	v_add_co_u32_e32 v4, vcc, s6, v14
	s_mov_b32 s6, s4
	s_mov_b32 s7, s4
	v_addc_co_u32_e32 v5, vcc, v15, v1, vcc
	s_mov_b32 s5, s4
	v_pk_mov_b32 v[16:17], s[6:7], s[6:7] op_sel:[0,1]
	v_mov_b32_e32 v1, v3
	v_mov_b32_e32 v2, v3
	v_readfirstlane_b32 s16, v4
	v_readfirstlane_b32 s17, v5
	v_pk_mov_b32 v[14:15], s[4:5], s[4:5] op_sel:[0,1]
	s_nop 3
	global_store_dwordx4 v37, v[0:3], s[16:17]
	global_store_dwordx4 v37, v[14:17], s[16:17] offset:16
	global_store_dwordx4 v37, v[14:17], s[16:17] offset:32
	;; [unrolled: 1-line block ×3, first 2 shown]
	s_and_saveexec_b64 s[6:7], s[0:1]
	s_cbranch_execz .LBB14_21
; %bb.14:                               ;   in Loop: Header=BB14_4 Depth=1
	global_load_dwordx2 v[20:21], v3, s[12:13] offset:32 glc
	global_load_dwordx2 v[14:15], v3, s[12:13] offset:40
	v_mov_b32_e32 v18, s14
	v_mov_b32_e32 v19, s15
	s_waitcnt vmcnt(0)
	v_and_b32_e32 v1, s14, v14
	v_and_b32_e32 v2, s15, v15
	v_mul_lo_u32 v2, v2, 24
	v_mul_hi_u32 v14, v1, 24
	v_mul_lo_u32 v1, v1, 24
	v_add_u32_e32 v2, v14, v2
	v_add_co_u32_e32 v16, vcc, v12, v1
	v_addc_co_u32_e32 v17, vcc, v13, v2, vcc
	global_store_dwordx2 v[16:17], v[20:21], off
	buffer_wbl2
	s_waitcnt vmcnt(0)
	global_atomic_cmpswap_x2 v[14:15], v3, v[18:21], s[12:13] offset:32 glc
	s_waitcnt vmcnt(0)
	v_cmp_ne_u64_e32 vcc, v[14:15], v[20:21]
	s_and_saveexec_b64 s[16:17], vcc
	s_cbranch_execz .LBB14_17
; %bb.15:                               ;   in Loop: Header=BB14_4 Depth=1
	s_mov_b64 s[18:19], 0
.LBB14_16:                              ;   Parent Loop BB14_4 Depth=1
                                        ; =>  This Inner Loop Header: Depth=2
	s_sleep 1
	global_store_dwordx2 v[16:17], v[14:15], off
	v_mov_b32_e32 v12, s14
	v_mov_b32_e32 v13, s15
	buffer_wbl2
	s_waitcnt vmcnt(0)
	global_atomic_cmpswap_x2 v[12:13], v3, v[12:15], s[12:13] offset:32 glc
	s_waitcnt vmcnt(0)
	v_cmp_eq_u64_e32 vcc, v[12:13], v[14:15]
	s_or_b64 s[18:19], vcc, s[18:19]
	v_pk_mov_b32 v[14:15], v[12:13], v[12:13] op_sel:[0,1]
	s_andn2_b64 exec, exec, s[18:19]
	s_cbranch_execnz .LBB14_16
.LBB14_17:                              ;   in Loop: Header=BB14_4 Depth=1
	s_or_b64 exec, exec, s[16:17]
	global_load_dwordx2 v[12:13], v3, s[12:13] offset:16
	s_mov_b64 s[18:19], exec
	v_mbcnt_lo_u32_b32 v1, s18, 0
	v_mbcnt_hi_u32_b32 v1, s19, v1
	v_cmp_eq_u32_e32 vcc, 0, v1
	s_and_saveexec_b64 s[16:17], vcc
	s_cbranch_execz .LBB14_19
; %bb.18:                               ;   in Loop: Header=BB14_4 Depth=1
	s_bcnt1_i32_b64 s5, s[18:19]
	v_mov_b32_e32 v2, s5
	buffer_wbl2
	s_waitcnt vmcnt(0)
	global_atomic_add_x2 v[12:13], v[2:3], off offset:8
.LBB14_19:                              ;   in Loop: Header=BB14_4 Depth=1
	s_or_b64 exec, exec, s[16:17]
	s_waitcnt vmcnt(0)
	global_load_dwordx2 v[14:15], v[12:13], off offset:16
	s_waitcnt vmcnt(0)
	v_cmp_eq_u64_e32 vcc, 0, v[14:15]
	s_cbranch_vccnz .LBB14_21
; %bb.20:                               ;   in Loop: Header=BB14_4 Depth=1
	global_load_dword v2, v[12:13], off offset:24
	s_waitcnt vmcnt(0)
	v_and_b32_e32 v1, 0xffffff, v2
	v_readfirstlane_b32 m0, v1
	buffer_wbl2
	global_store_dwordx2 v[14:15], v[2:3], off
	s_sendmsg sendmsg(MSG_INTERRUPT)
.LBB14_21:                              ;   in Loop: Header=BB14_4 Depth=1
	s_or_b64 exec, exec, s[6:7]
	v_add_co_u32_e32 v4, vcc, v4, v37
	v_addc_co_u32_e32 v5, vcc, 0, v5, vcc
	s_branch .LBB14_25
.LBB14_22:                              ;   in Loop: Header=BB14_25 Depth=2
	s_or_b64 exec, exec, s[6:7]
	v_readfirstlane_b32 s5, v1
	s_cmp_eq_u32 s5, 0
	s_cbranch_scc1 .LBB14_24
; %bb.23:                               ;   in Loop: Header=BB14_25 Depth=2
	s_sleep 1
	s_cbranch_execnz .LBB14_25
	s_branch .LBB14_27
.LBB14_24:                              ;   in Loop: Header=BB14_4 Depth=1
	s_branch .LBB14_27
.LBB14_25:                              ;   Parent Loop BB14_4 Depth=1
                                        ; =>  This Inner Loop Header: Depth=2
	v_mov_b32_e32 v1, 1
	s_and_saveexec_b64 s[6:7], s[0:1]
	s_cbranch_execz .LBB14_22
; %bb.26:                               ;   in Loop: Header=BB14_25 Depth=2
	global_load_dword v1, v[8:9], off offset:20 glc
	s_waitcnt vmcnt(0)
	buffer_invl2
	buffer_wbinvl1_vol
	v_and_b32_e32 v1, 1, v1
	s_branch .LBB14_22
.LBB14_27:                              ;   in Loop: Header=BB14_4 Depth=1
	global_load_dwordx2 v[12:13], v[4:5], off
	s_and_saveexec_b64 s[6:7], s[0:1]
	s_cbranch_execz .LBB14_31
; %bb.28:                               ;   in Loop: Header=BB14_4 Depth=1
	global_load_dwordx2 v[4:5], v3, s[12:13] offset:40
	global_load_dwordx2 v[8:9], v3, s[12:13] offset:24 glc
	global_load_dwordx2 v[18:19], v3, s[12:13]
	v_mov_b32_e32 v1, s15
	s_waitcnt vmcnt(2)
	v_add_co_u32_e32 v2, vcc, 1, v4
	v_addc_co_u32_e32 v17, vcc, 0, v5, vcc
	v_add_co_u32_e32 v14, vcc, s14, v2
	v_addc_co_u32_e32 v15, vcc, v17, v1, vcc
	v_cmp_eq_u64_e32 vcc, 0, v[14:15]
	v_cndmask_b32_e32 v15, v15, v17, vcc
	v_cndmask_b32_e32 v14, v14, v2, vcc
	v_and_b32_e32 v1, v15, v5
	v_and_b32_e32 v2, v14, v4
	v_mul_lo_u32 v1, v1, 24
	v_mul_hi_u32 v4, v2, 24
	v_mul_lo_u32 v2, v2, 24
	v_add_u32_e32 v1, v4, v1
	s_waitcnt vmcnt(0)
	v_add_co_u32_e32 v4, vcc, v18, v2
	v_addc_co_u32_e32 v5, vcc, v19, v1, vcc
	v_mov_b32_e32 v16, v8
	global_store_dwordx2 v[4:5], v[8:9], off
	v_mov_b32_e32 v17, v9
	buffer_wbl2
	s_waitcnt vmcnt(0)
	global_atomic_cmpswap_x2 v[16:17], v3, v[14:17], s[12:13] offset:24 glc
	s_waitcnt vmcnt(0)
	v_cmp_ne_u64_e32 vcc, v[16:17], v[8:9]
	s_and_b64 exec, exec, vcc
	s_cbranch_execz .LBB14_31
; %bb.29:                               ;   in Loop: Header=BB14_4 Depth=1
	s_mov_b64 s[0:1], 0
.LBB14_30:                              ;   Parent Loop BB14_4 Depth=1
                                        ; =>  This Inner Loop Header: Depth=2
	s_sleep 1
	global_store_dwordx2 v[4:5], v[16:17], off
	buffer_wbl2
	s_waitcnt vmcnt(0)
	global_atomic_cmpswap_x2 v[8:9], v3, v[14:17], s[12:13] offset:24 glc
	s_waitcnt vmcnt(0)
	v_cmp_eq_u64_e32 vcc, v[8:9], v[16:17]
	s_or_b64 s[0:1], vcc, s[0:1]
	v_pk_mov_b32 v[16:17], v[8:9], v[8:9] op_sel:[0,1]
	s_andn2_b64 exec, exec, s[0:1]
	s_cbranch_execnz .LBB14_30
.LBB14_31:                              ;   in Loop: Header=BB14_4 Depth=1
	s_or_b64 exec, exec, s[6:7]
	s_and_b64 vcc, exec, s[10:11]
	s_cbranch_vccz .LBB14_116
; %bb.32:                               ;   in Loop: Header=BB14_4 Depth=1
	s_waitcnt vmcnt(0)
	v_and_b32_e32 v8, 2, v12
	v_and_b32_e32 v14, -3, v12
	v_mov_b32_e32 v15, v13
	s_mov_b64 s[14:15], 20
	s_getpc_b64 s[6:7]
	s_add_u32 s6, s6, .str.4@rel32@lo+4
	s_addc_u32 s7, s7, .str.4@rel32@hi+12
	s_branch .LBB14_34
.LBB14_33:                              ;   in Loop: Header=BB14_34 Depth=2
	s_or_b64 exec, exec, s[20:21]
	s_sub_u32 s14, s14, s16
	s_subb_u32 s15, s15, s17
	s_add_u32 s6, s6, s16
	s_addc_u32 s7, s7, s17
	s_cmp_lg_u64 s[14:15], 0
	s_cbranch_scc0 .LBB14_115
.LBB14_34:                              ;   Parent Loop BB14_4 Depth=1
                                        ; =>  This Loop Header: Depth=2
                                        ;       Child Loop BB14_37 Depth 3
                                        ;       Child Loop BB14_44 Depth 3
	;; [unrolled: 1-line block ×11, first 2 shown]
	v_cmp_lt_u64_e64 s[0:1], s[14:15], 56
	s_and_b64 s[0:1], s[0:1], exec
	v_cmp_gt_u64_e64 s[0:1], s[14:15], 7
	s_cselect_b32 s17, s15, 0
	s_cselect_b32 s16, s14, 56
	s_and_b64 vcc, exec, s[0:1]
	s_cbranch_vccnz .LBB14_39
; %bb.35:                               ;   in Loop: Header=BB14_34 Depth=2
	s_mov_b64 s[0:1], 0
	s_cmp_eq_u64 s[14:15], 0
	s_waitcnt vmcnt(0)
	v_pk_mov_b32 v[16:17], 0, 0
	s_cbranch_scc1 .LBB14_38
; %bb.36:                               ;   in Loop: Header=BB14_34 Depth=2
	s_lshl_b64 s[18:19], s[16:17], 3
	s_mov_b64 s[20:21], 0
	v_pk_mov_b32 v[16:17], 0, 0
	s_mov_b64 s[22:23], s[6:7]
.LBB14_37:                              ;   Parent Loop BB14_4 Depth=1
                                        ;     Parent Loop BB14_34 Depth=2
                                        ; =>    This Inner Loop Header: Depth=3
	global_load_ubyte v1, v3, s[22:23]
	s_waitcnt vmcnt(0)
	v_and_b32_e32 v2, 0xffff, v1
	v_lshlrev_b64 v[4:5], s20, v[2:3]
	s_add_u32 s20, s20, 8
	s_addc_u32 s21, s21, 0
	s_add_u32 s22, s22, 1
	s_addc_u32 s23, s23, 0
	v_or_b32_e32 v16, v4, v16
	s_cmp_lg_u32 s18, s20
	v_or_b32_e32 v17, v5, v17
	s_cbranch_scc1 .LBB14_37
.LBB14_38:                              ;   in Loop: Header=BB14_34 Depth=2
	s_mov_b32 s5, 0
	s_andn2_b64 vcc, exec, s[0:1]
	s_mov_b64 s[0:1], s[6:7]
	s_cbranch_vccz .LBB14_40
	s_branch .LBB14_41
.LBB14_39:                              ;   in Loop: Header=BB14_34 Depth=2
                                        ; implicit-def: $vgpr16_vgpr17
                                        ; implicit-def: $sgpr5
	s_mov_b64 s[0:1], s[6:7]
.LBB14_40:                              ;   in Loop: Header=BB14_34 Depth=2
	global_load_dwordx2 v[16:17], v3, s[6:7]
	s_add_i32 s5, s16, -8
	s_add_u32 s0, s6, 8
	s_addc_u32 s1, s7, 0
.LBB14_41:                              ;   in Loop: Header=BB14_34 Depth=2
	s_cmp_gt_u32 s5, 7
	s_cbranch_scc1 .LBB14_45
; %bb.42:                               ;   in Loop: Header=BB14_34 Depth=2
	s_cmp_eq_u32 s5, 0
	s_cbranch_scc1 .LBB14_46
; %bb.43:                               ;   in Loop: Header=BB14_34 Depth=2
	s_mov_b64 s[18:19], 0
	v_pk_mov_b32 v[18:19], 0, 0
	s_mov_b64 s[20:21], 0
.LBB14_44:                              ;   Parent Loop BB14_4 Depth=1
                                        ;     Parent Loop BB14_34 Depth=2
                                        ; =>    This Inner Loop Header: Depth=3
	s_add_u32 s22, s0, s20
	s_addc_u32 s23, s1, s21
	global_load_ubyte v1, v3, s[22:23]
	s_add_u32 s20, s20, 1
	s_addc_u32 s21, s21, 0
	s_waitcnt vmcnt(0)
	v_and_b32_e32 v2, 0xffff, v1
	v_lshlrev_b64 v[4:5], s18, v[2:3]
	s_add_u32 s18, s18, 8
	s_addc_u32 s19, s19, 0
	v_or_b32_e32 v18, v4, v18
	s_cmp_lg_u32 s5, s20
	v_or_b32_e32 v19, v5, v19
	s_cbranch_scc1 .LBB14_44
	s_branch .LBB14_47
.LBB14_45:                              ;   in Loop: Header=BB14_34 Depth=2
                                        ; implicit-def: $vgpr18_vgpr19
                                        ; implicit-def: $sgpr22
	s_branch .LBB14_48
.LBB14_46:                              ;   in Loop: Header=BB14_34 Depth=2
	v_pk_mov_b32 v[18:19], 0, 0
.LBB14_47:                              ;   in Loop: Header=BB14_34 Depth=2
	s_mov_b32 s22, 0
	s_cbranch_execnz .LBB14_49
.LBB14_48:                              ;   in Loop: Header=BB14_34 Depth=2
	global_load_dwordx2 v[18:19], v3, s[0:1]
	s_add_i32 s22, s5, -8
	s_add_u32 s0, s0, 8
	s_addc_u32 s1, s1, 0
.LBB14_49:                              ;   in Loop: Header=BB14_34 Depth=2
	s_cmp_gt_u32 s22, 7
	s_cbranch_scc1 .LBB14_53
; %bb.50:                               ;   in Loop: Header=BB14_34 Depth=2
	s_cmp_eq_u32 s22, 0
	s_cbranch_scc1 .LBB14_54
; %bb.51:                               ;   in Loop: Header=BB14_34 Depth=2
	s_mov_b64 s[18:19], 0
	v_pk_mov_b32 v[20:21], 0, 0
	s_mov_b64 s[20:21], 0
.LBB14_52:                              ;   Parent Loop BB14_4 Depth=1
                                        ;     Parent Loop BB14_34 Depth=2
                                        ; =>    This Inner Loop Header: Depth=3
	s_add_u32 s24, s0, s20
	s_addc_u32 s25, s1, s21
	global_load_ubyte v1, v3, s[24:25]
	s_add_u32 s20, s20, 1
	s_addc_u32 s21, s21, 0
	s_waitcnt vmcnt(0)
	v_and_b32_e32 v2, 0xffff, v1
	v_lshlrev_b64 v[4:5], s18, v[2:3]
	s_add_u32 s18, s18, 8
	s_addc_u32 s19, s19, 0
	v_or_b32_e32 v20, v4, v20
	s_cmp_lg_u32 s22, s20
	v_or_b32_e32 v21, v5, v21
	s_cbranch_scc1 .LBB14_52
	s_branch .LBB14_55
.LBB14_53:                              ;   in Loop: Header=BB14_34 Depth=2
                                        ; implicit-def: $sgpr5
	s_branch .LBB14_56
.LBB14_54:                              ;   in Loop: Header=BB14_34 Depth=2
	v_pk_mov_b32 v[20:21], 0, 0
.LBB14_55:                              ;   in Loop: Header=BB14_34 Depth=2
	s_mov_b32 s5, 0
	s_cbranch_execnz .LBB14_57
.LBB14_56:                              ;   in Loop: Header=BB14_34 Depth=2
	global_load_dwordx2 v[20:21], v3, s[0:1]
	s_add_i32 s5, s22, -8
	s_add_u32 s0, s0, 8
	s_addc_u32 s1, s1, 0
.LBB14_57:                              ;   in Loop: Header=BB14_34 Depth=2
	s_cmp_gt_u32 s5, 7
	s_cbranch_scc1 .LBB14_61
; %bb.58:                               ;   in Loop: Header=BB14_34 Depth=2
	s_cmp_eq_u32 s5, 0
	s_cbranch_scc1 .LBB14_62
; %bb.59:                               ;   in Loop: Header=BB14_34 Depth=2
	s_mov_b64 s[18:19], 0
	v_pk_mov_b32 v[22:23], 0, 0
	s_mov_b64 s[20:21], 0
.LBB14_60:                              ;   Parent Loop BB14_4 Depth=1
                                        ;     Parent Loop BB14_34 Depth=2
                                        ; =>    This Inner Loop Header: Depth=3
	s_add_u32 s22, s0, s20
	s_addc_u32 s23, s1, s21
	global_load_ubyte v1, v3, s[22:23]
	s_add_u32 s20, s20, 1
	s_addc_u32 s21, s21, 0
	s_waitcnt vmcnt(0)
	v_and_b32_e32 v2, 0xffff, v1
	v_lshlrev_b64 v[4:5], s18, v[2:3]
	s_add_u32 s18, s18, 8
	s_addc_u32 s19, s19, 0
	v_or_b32_e32 v22, v4, v22
	s_cmp_lg_u32 s5, s20
	v_or_b32_e32 v23, v5, v23
	s_cbranch_scc1 .LBB14_60
	s_branch .LBB14_63
.LBB14_61:                              ;   in Loop: Header=BB14_34 Depth=2
                                        ; implicit-def: $vgpr22_vgpr23
                                        ; implicit-def: $sgpr22
	s_branch .LBB14_64
.LBB14_62:                              ;   in Loop: Header=BB14_34 Depth=2
	v_pk_mov_b32 v[22:23], 0, 0
.LBB14_63:                              ;   in Loop: Header=BB14_34 Depth=2
	s_mov_b32 s22, 0
	s_cbranch_execnz .LBB14_65
.LBB14_64:                              ;   in Loop: Header=BB14_34 Depth=2
	global_load_dwordx2 v[22:23], v3, s[0:1]
	s_add_i32 s22, s5, -8
	s_add_u32 s0, s0, 8
	s_addc_u32 s1, s1, 0
.LBB14_65:                              ;   in Loop: Header=BB14_34 Depth=2
	s_cmp_gt_u32 s22, 7
	s_cbranch_scc1 .LBB14_69
; %bb.66:                               ;   in Loop: Header=BB14_34 Depth=2
	s_cmp_eq_u32 s22, 0
	s_cbranch_scc1 .LBB14_70
; %bb.67:                               ;   in Loop: Header=BB14_34 Depth=2
	s_mov_b64 s[18:19], 0
	v_pk_mov_b32 v[24:25], 0, 0
	s_mov_b64 s[20:21], 0
.LBB14_68:                              ;   Parent Loop BB14_4 Depth=1
                                        ;     Parent Loop BB14_34 Depth=2
                                        ; =>    This Inner Loop Header: Depth=3
	s_add_u32 s24, s0, s20
	s_addc_u32 s25, s1, s21
	global_load_ubyte v1, v3, s[24:25]
	s_add_u32 s20, s20, 1
	s_addc_u32 s21, s21, 0
	s_waitcnt vmcnt(0)
	v_and_b32_e32 v2, 0xffff, v1
	v_lshlrev_b64 v[4:5], s18, v[2:3]
	s_add_u32 s18, s18, 8
	s_addc_u32 s19, s19, 0
	v_or_b32_e32 v24, v4, v24
	s_cmp_lg_u32 s22, s20
	v_or_b32_e32 v25, v5, v25
	s_cbranch_scc1 .LBB14_68
	s_branch .LBB14_71
.LBB14_69:                              ;   in Loop: Header=BB14_34 Depth=2
                                        ; implicit-def: $sgpr5
	s_branch .LBB14_72
.LBB14_70:                              ;   in Loop: Header=BB14_34 Depth=2
	v_pk_mov_b32 v[24:25], 0, 0
.LBB14_71:                              ;   in Loop: Header=BB14_34 Depth=2
	s_mov_b32 s5, 0
	s_cbranch_execnz .LBB14_73
.LBB14_72:                              ;   in Loop: Header=BB14_34 Depth=2
	global_load_dwordx2 v[24:25], v3, s[0:1]
	s_add_i32 s5, s22, -8
	s_add_u32 s0, s0, 8
	s_addc_u32 s1, s1, 0
.LBB14_73:                              ;   in Loop: Header=BB14_34 Depth=2
	s_cmp_gt_u32 s5, 7
	s_cbranch_scc1 .LBB14_77
; %bb.74:                               ;   in Loop: Header=BB14_34 Depth=2
	s_cmp_eq_u32 s5, 0
	s_cbranch_scc1 .LBB14_78
; %bb.75:                               ;   in Loop: Header=BB14_34 Depth=2
	s_mov_b64 s[18:19], 0
	v_pk_mov_b32 v[26:27], 0, 0
	s_mov_b64 s[20:21], 0
.LBB14_76:                              ;   Parent Loop BB14_4 Depth=1
                                        ;     Parent Loop BB14_34 Depth=2
                                        ; =>    This Inner Loop Header: Depth=3
	s_add_u32 s22, s0, s20
	s_addc_u32 s23, s1, s21
	global_load_ubyte v1, v3, s[22:23]
	s_add_u32 s20, s20, 1
	s_addc_u32 s21, s21, 0
	s_waitcnt vmcnt(0)
	v_and_b32_e32 v2, 0xffff, v1
	v_lshlrev_b64 v[4:5], s18, v[2:3]
	s_add_u32 s18, s18, 8
	s_addc_u32 s19, s19, 0
	v_or_b32_e32 v26, v4, v26
	s_cmp_lg_u32 s5, s20
	v_or_b32_e32 v27, v5, v27
	s_cbranch_scc1 .LBB14_76
	s_branch .LBB14_79
.LBB14_77:                              ;   in Loop: Header=BB14_34 Depth=2
                                        ; implicit-def: $vgpr26_vgpr27
                                        ; implicit-def: $sgpr22
	s_branch .LBB14_80
.LBB14_78:                              ;   in Loop: Header=BB14_34 Depth=2
	v_pk_mov_b32 v[26:27], 0, 0
.LBB14_79:                              ;   in Loop: Header=BB14_34 Depth=2
	s_mov_b32 s22, 0
	s_cbranch_execnz .LBB14_81
.LBB14_80:                              ;   in Loop: Header=BB14_34 Depth=2
	global_load_dwordx2 v[26:27], v3, s[0:1]
	s_add_i32 s22, s5, -8
	s_add_u32 s0, s0, 8
	s_addc_u32 s1, s1, 0
.LBB14_81:                              ;   in Loop: Header=BB14_34 Depth=2
	s_cmp_gt_u32 s22, 7
	s_cbranch_scc1 .LBB14_85
; %bb.82:                               ;   in Loop: Header=BB14_34 Depth=2
	s_cmp_eq_u32 s22, 0
	s_cbranch_scc1 .LBB14_86
; %bb.83:                               ;   in Loop: Header=BB14_34 Depth=2
	s_mov_b64 s[18:19], 0
	v_pk_mov_b32 v[28:29], 0, 0
	s_mov_b64 s[20:21], s[0:1]
.LBB14_84:                              ;   Parent Loop BB14_4 Depth=1
                                        ;     Parent Loop BB14_34 Depth=2
                                        ; =>    This Inner Loop Header: Depth=3
	global_load_ubyte v1, v3, s[20:21]
	s_add_i32 s22, s22, -1
	s_waitcnt vmcnt(0)
	v_and_b32_e32 v2, 0xffff, v1
	v_lshlrev_b64 v[4:5], s18, v[2:3]
	s_add_u32 s18, s18, 8
	s_addc_u32 s19, s19, 0
	s_add_u32 s20, s20, 1
	s_addc_u32 s21, s21, 0
	v_or_b32_e32 v28, v4, v28
	s_cmp_lg_u32 s22, 0
	v_or_b32_e32 v29, v5, v29
	s_cbranch_scc1 .LBB14_84
	s_branch .LBB14_87
.LBB14_85:                              ;   in Loop: Header=BB14_34 Depth=2
	s_branch .LBB14_88
.LBB14_86:                              ;   in Loop: Header=BB14_34 Depth=2
	v_pk_mov_b32 v[28:29], 0, 0
.LBB14_87:                              ;   in Loop: Header=BB14_34 Depth=2
	s_cbranch_execnz .LBB14_89
.LBB14_88:                              ;   in Loop: Header=BB14_34 Depth=2
	global_load_dwordx2 v[28:29], v3, s[0:1]
.LBB14_89:                              ;   in Loop: Header=BB14_34 Depth=2
	v_readfirstlane_b32 s0, v36
	v_cmp_eq_u32_e64 s[0:1], s0, v36
	v_pk_mov_b32 v[4:5], 0, 0
	s_and_saveexec_b64 s[18:19], s[0:1]
	s_cbranch_execz .LBB14_95
; %bb.90:                               ;   in Loop: Header=BB14_34 Depth=2
	global_load_dwordx2 v[32:33], v3, s[12:13] offset:24 glc
	s_waitcnt vmcnt(0)
	buffer_invl2
	buffer_wbinvl1_vol
	global_load_dwordx2 v[4:5], v3, s[12:13] offset:40
	global_load_dwordx2 v[30:31], v3, s[12:13]
	s_waitcnt vmcnt(1)
	v_and_b32_e32 v1, v4, v32
	v_and_b32_e32 v2, v5, v33
	v_mul_lo_u32 v2, v2, 24
	v_mul_hi_u32 v4, v1, 24
	v_mul_lo_u32 v1, v1, 24
	v_add_u32_e32 v2, v4, v2
	s_waitcnt vmcnt(0)
	v_add_co_u32_e32 v4, vcc, v30, v1
	v_addc_co_u32_e32 v5, vcc, v31, v2, vcc
	global_load_dwordx2 v[30:31], v[4:5], off glc
	s_waitcnt vmcnt(0)
	global_atomic_cmpswap_x2 v[4:5], v3, v[30:33], s[12:13] offset:24 glc
	s_waitcnt vmcnt(0)
	buffer_invl2
	buffer_wbinvl1_vol
	v_cmp_ne_u64_e32 vcc, v[4:5], v[32:33]
	s_and_saveexec_b64 s[20:21], vcc
	s_cbranch_execz .LBB14_94
; %bb.91:                               ;   in Loop: Header=BB14_34 Depth=2
	s_mov_b64 s[22:23], 0
.LBB14_92:                              ;   Parent Loop BB14_4 Depth=1
                                        ;     Parent Loop BB14_34 Depth=2
                                        ; =>    This Inner Loop Header: Depth=3
	s_sleep 1
	global_load_dwordx2 v[30:31], v3, s[12:13] offset:40
	global_load_dwordx2 v[34:35], v3, s[12:13]
	v_pk_mov_b32 v[32:33], v[4:5], v[4:5] op_sel:[0,1]
	s_waitcnt vmcnt(1)
	v_and_b32_e32 v2, v30, v32
	s_waitcnt vmcnt(0)
	v_mad_u64_u32 v[4:5], s[24:25], v2, 24, v[34:35]
	v_and_b32_e32 v1, v31, v33
	v_mov_b32_e32 v2, v5
	v_mad_u64_u32 v[30:31], s[24:25], v1, 24, v[2:3]
	v_mov_b32_e32 v5, v30
	global_load_dwordx2 v[30:31], v[4:5], off glc
	s_waitcnt vmcnt(0)
	global_atomic_cmpswap_x2 v[4:5], v3, v[30:33], s[12:13] offset:24 glc
	s_waitcnt vmcnt(0)
	buffer_invl2
	buffer_wbinvl1_vol
	v_cmp_eq_u64_e32 vcc, v[4:5], v[32:33]
	s_or_b64 s[22:23], vcc, s[22:23]
	s_andn2_b64 exec, exec, s[22:23]
	s_cbranch_execnz .LBB14_92
; %bb.93:                               ;   in Loop: Header=BB14_34 Depth=2
	s_or_b64 exec, exec, s[22:23]
.LBB14_94:                              ;   in Loop: Header=BB14_34 Depth=2
	s_or_b64 exec, exec, s[20:21]
.LBB14_95:                              ;   in Loop: Header=BB14_34 Depth=2
	s_or_b64 exec, exec, s[18:19]
	global_load_dwordx2 v[34:35], v3, s[12:13] offset:40
	global_load_dwordx4 v[30:33], v3, s[12:13]
	v_readfirstlane_b32 s18, v4
	v_readfirstlane_b32 s19, v5
	s_mov_b64 s[20:21], exec
	s_waitcnt vmcnt(1)
	v_readfirstlane_b32 s22, v34
	v_readfirstlane_b32 s23, v35
	s_and_b64 s[22:23], s[18:19], s[22:23]
	s_mul_i32 s5, s23, 24
	s_mul_hi_u32 s24, s22, 24
	s_mul_i32 s25, s22, 24
	s_add_i32 s5, s24, s5
	v_mov_b32_e32 v1, s5
	s_waitcnt vmcnt(0)
	v_add_co_u32_e32 v34, vcc, s25, v30
	v_addc_co_u32_e32 v35, vcc, v31, v1, vcc
	s_and_saveexec_b64 s[24:25], s[0:1]
	s_cbranch_execz .LBB14_97
; %bb.96:                               ;   in Loop: Header=BB14_34 Depth=2
	v_pk_mov_b32 v[4:5], s[20:21], s[20:21] op_sel:[0,1]
	global_store_dwordx4 v[34:35], v[4:7], off offset:8
.LBB14_97:                              ;   in Loop: Header=BB14_34 Depth=2
	s_or_b64 exec, exec, s[24:25]
	s_lshl_b64 s[20:21], s[22:23], 12
	v_mov_b32_e32 v1, s21
	v_add_co_u32_e32 v4, vcc, s20, v32
	v_addc_co_u32_e32 v1, vcc, v33, v1, vcc
	v_or_b32_e32 v2, 0, v15
	v_or_b32_e32 v5, v14, v8
	v_cmp_gt_u64_e64 vcc, s[14:15], 56
	s_lshl_b32 s5, s16, 2
	v_cndmask_b32_e32 v15, v2, v15, vcc
	v_cndmask_b32_e32 v2, v5, v14, vcc
	s_add_i32 s5, s5, 28
	s_and_b32 s5, s5, 0x1e0
	v_and_b32_e32 v2, 0xffffff1f, v2
	v_or_b32_e32 v14, s5, v2
	v_readfirstlane_b32 s20, v4
	v_readfirstlane_b32 s21, v1
	s_nop 4
	global_store_dwordx4 v37, v[14:17], s[20:21]
	global_store_dwordx4 v37, v[18:21], s[20:21] offset:16
	global_store_dwordx4 v37, v[22:25], s[20:21] offset:32
	;; [unrolled: 1-line block ×3, first 2 shown]
	s_and_saveexec_b64 s[20:21], s[0:1]
	s_cbranch_execz .LBB14_105
; %bb.98:                               ;   in Loop: Header=BB14_34 Depth=2
	global_load_dwordx2 v[22:23], v3, s[12:13] offset:32 glc
	global_load_dwordx2 v[14:15], v3, s[12:13] offset:40
	v_mov_b32_e32 v20, s18
	v_mov_b32_e32 v21, s19
	s_waitcnt vmcnt(0)
	v_readfirstlane_b32 s22, v14
	v_readfirstlane_b32 s23, v15
	s_and_b64 s[22:23], s[22:23], s[18:19]
	s_mul_i32 s5, s23, 24
	s_mul_hi_u32 s23, s22, 24
	s_mul_i32 s22, s22, 24
	s_add_i32 s5, s23, s5
	v_mov_b32_e32 v2, s5
	v_add_co_u32_e32 v18, vcc, s22, v30
	v_addc_co_u32_e32 v19, vcc, v31, v2, vcc
	global_store_dwordx2 v[18:19], v[22:23], off
	buffer_wbl2
	s_waitcnt vmcnt(0)
	global_atomic_cmpswap_x2 v[16:17], v3, v[20:23], s[12:13] offset:32 glc
	s_waitcnt vmcnt(0)
	v_cmp_ne_u64_e32 vcc, v[16:17], v[22:23]
	s_and_saveexec_b64 s[22:23], vcc
	s_cbranch_execz .LBB14_101
; %bb.99:                               ;   in Loop: Header=BB14_34 Depth=2
	s_mov_b64 s[24:25], 0
.LBB14_100:                             ;   Parent Loop BB14_4 Depth=1
                                        ;     Parent Loop BB14_34 Depth=2
                                        ; =>    This Inner Loop Header: Depth=3
	s_sleep 1
	global_store_dwordx2 v[18:19], v[16:17], off
	v_mov_b32_e32 v14, s18
	v_mov_b32_e32 v15, s19
	buffer_wbl2
	s_waitcnt vmcnt(0)
	global_atomic_cmpswap_x2 v[14:15], v3, v[14:17], s[12:13] offset:32 glc
	s_waitcnt vmcnt(0)
	v_cmp_eq_u64_e32 vcc, v[14:15], v[16:17]
	s_or_b64 s[24:25], vcc, s[24:25]
	v_pk_mov_b32 v[16:17], v[14:15], v[14:15] op_sel:[0,1]
	s_andn2_b64 exec, exec, s[24:25]
	s_cbranch_execnz .LBB14_100
.LBB14_101:                             ;   in Loop: Header=BB14_34 Depth=2
	s_or_b64 exec, exec, s[22:23]
	global_load_dwordx2 v[14:15], v3, s[12:13] offset:16
	s_mov_b64 s[24:25], exec
	v_mbcnt_lo_u32_b32 v2, s24, 0
	v_mbcnt_hi_u32_b32 v2, s25, v2
	v_cmp_eq_u32_e32 vcc, 0, v2
	s_and_saveexec_b64 s[22:23], vcc
	s_cbranch_execz .LBB14_103
; %bb.102:                              ;   in Loop: Header=BB14_34 Depth=2
	s_bcnt1_i32_b64 s5, s[24:25]
	v_mov_b32_e32 v2, s5
	buffer_wbl2
	s_waitcnt vmcnt(0)
	global_atomic_add_x2 v[14:15], v[2:3], off offset:8
.LBB14_103:                             ;   in Loop: Header=BB14_34 Depth=2
	s_or_b64 exec, exec, s[22:23]
	s_waitcnt vmcnt(0)
	global_load_dwordx2 v[16:17], v[14:15], off offset:16
	s_waitcnt vmcnt(0)
	v_cmp_eq_u64_e32 vcc, 0, v[16:17]
	s_cbranch_vccnz .LBB14_105
; %bb.104:                              ;   in Loop: Header=BB14_34 Depth=2
	global_load_dword v2, v[14:15], off offset:24
	buffer_wbl2
	s_waitcnt vmcnt(0)
	global_store_dwordx2 v[16:17], v[2:3], off
	v_and_b32_e32 v2, 0xffffff, v2
	v_readfirstlane_b32 m0, v2
	s_sendmsg sendmsg(MSG_INTERRUPT)
.LBB14_105:                             ;   in Loop: Header=BB14_34 Depth=2
	s_or_b64 exec, exec, s[20:21]
	v_add_co_u32_e32 v4, vcc, v4, v37
	v_addc_co_u32_e32 v5, vcc, 0, v1, vcc
	s_branch .LBB14_109
.LBB14_106:                             ;   in Loop: Header=BB14_109 Depth=3
	s_or_b64 exec, exec, s[20:21]
	v_readfirstlane_b32 s5, v1
	s_cmp_eq_u32 s5, 0
	s_cbranch_scc1 .LBB14_108
; %bb.107:                              ;   in Loop: Header=BB14_109 Depth=3
	s_sleep 1
	s_cbranch_execnz .LBB14_109
	s_branch .LBB14_111
.LBB14_108:                             ;   in Loop: Header=BB14_34 Depth=2
	s_branch .LBB14_111
.LBB14_109:                             ;   Parent Loop BB14_4 Depth=1
                                        ;     Parent Loop BB14_34 Depth=2
                                        ; =>    This Inner Loop Header: Depth=3
	v_mov_b32_e32 v1, 1
	s_and_saveexec_b64 s[20:21], s[0:1]
	s_cbranch_execz .LBB14_106
; %bb.110:                              ;   in Loop: Header=BB14_109 Depth=3
	global_load_dword v1, v[34:35], off offset:20 glc
	s_waitcnt vmcnt(0)
	buffer_invl2
	buffer_wbinvl1_vol
	v_and_b32_e32 v1, 1, v1
	s_branch .LBB14_106
.LBB14_111:                             ;   in Loop: Header=BB14_34 Depth=2
	global_load_dwordx4 v[14:17], v[4:5], off
	s_and_saveexec_b64 s[20:21], s[0:1]
	s_cbranch_execz .LBB14_33
; %bb.112:                              ;   in Loop: Header=BB14_34 Depth=2
	global_load_dwordx2 v[4:5], v3, s[12:13] offset:40
	global_load_dwordx2 v[20:21], v3, s[12:13] offset:24 glc
	global_load_dwordx2 v[22:23], v3, s[12:13]
	v_mov_b32_e32 v1, s19
	s_waitcnt vmcnt(2)
	v_add_co_u32_e32 v2, vcc, 1, v4
	v_addc_co_u32_e32 v9, vcc, 0, v5, vcc
	v_add_co_u32_e32 v16, vcc, s18, v2
	v_addc_co_u32_e32 v17, vcc, v9, v1, vcc
	v_cmp_eq_u64_e32 vcc, 0, v[16:17]
	v_cndmask_b32_e32 v17, v17, v9, vcc
	v_cndmask_b32_e32 v16, v16, v2, vcc
	v_and_b32_e32 v1, v17, v5
	v_and_b32_e32 v2, v16, v4
	v_mul_lo_u32 v1, v1, 24
	v_mul_hi_u32 v4, v2, 24
	v_mul_lo_u32 v2, v2, 24
	v_add_u32_e32 v1, v4, v1
	s_waitcnt vmcnt(0)
	v_add_co_u32_e32 v4, vcc, v22, v2
	v_addc_co_u32_e32 v5, vcc, v23, v1, vcc
	v_mov_b32_e32 v18, v20
	global_store_dwordx2 v[4:5], v[20:21], off
	v_mov_b32_e32 v19, v21
	buffer_wbl2
	s_waitcnt vmcnt(0)
	global_atomic_cmpswap_x2 v[18:19], v3, v[16:19], s[12:13] offset:24 glc
	s_waitcnt vmcnt(0)
	v_cmp_ne_u64_e32 vcc, v[18:19], v[20:21]
	s_and_b64 exec, exec, vcc
	s_cbranch_execz .LBB14_33
; %bb.113:                              ;   in Loop: Header=BB14_34 Depth=2
	s_mov_b64 s[0:1], 0
.LBB14_114:                             ;   Parent Loop BB14_4 Depth=1
                                        ;     Parent Loop BB14_34 Depth=2
                                        ; =>    This Inner Loop Header: Depth=3
	s_sleep 1
	global_store_dwordx2 v[4:5], v[18:19], off
	buffer_wbl2
	s_waitcnt vmcnt(0)
	global_atomic_cmpswap_x2 v[20:21], v3, v[16:19], s[12:13] offset:24 glc
	s_waitcnt vmcnt(0)
	v_cmp_eq_u64_e32 vcc, v[20:21], v[18:19]
	s_or_b64 s[0:1], vcc, s[0:1]
	v_pk_mov_b32 v[18:19], v[20:21], v[20:21] op_sel:[0,1]
	s_andn2_b64 exec, exec, s[0:1]
	s_cbranch_execnz .LBB14_114
	s_branch .LBB14_33
.LBB14_115:                             ;   in Loop: Header=BB14_4 Depth=1
	s_branch .LBB14_144
.LBB14_116:                             ;   in Loop: Header=BB14_4 Depth=1
                                        ; implicit-def: $vgpr14_vgpr15
	s_cbranch_execz .LBB14_144
; %bb.117:                              ;   in Loop: Header=BB14_4 Depth=1
	v_readfirstlane_b32 s0, v36
	v_cmp_eq_u32_e64 s[0:1], s0, v36
	v_pk_mov_b32 v[4:5], 0, 0
	s_and_saveexec_b64 s[6:7], s[0:1]
	s_cbranch_execz .LBB14_123
; %bb.118:                              ;   in Loop: Header=BB14_4 Depth=1
	global_load_dwordx2 v[16:17], v3, s[12:13] offset:24 glc
	s_waitcnt vmcnt(0)
	buffer_invl2
	buffer_wbinvl1_vol
	global_load_dwordx2 v[4:5], v3, s[12:13] offset:40
	global_load_dwordx2 v[8:9], v3, s[12:13]
	s_waitcnt vmcnt(1)
	v_and_b32_e32 v1, v4, v16
	v_and_b32_e32 v2, v5, v17
	v_mul_lo_u32 v2, v2, 24
	v_mul_hi_u32 v4, v1, 24
	v_mul_lo_u32 v1, v1, 24
	v_add_u32_e32 v2, v4, v2
	s_waitcnt vmcnt(0)
	v_add_co_u32_e32 v4, vcc, v8, v1
	v_addc_co_u32_e32 v5, vcc, v9, v2, vcc
	global_load_dwordx2 v[14:15], v[4:5], off glc
	s_waitcnt vmcnt(0)
	global_atomic_cmpswap_x2 v[4:5], v3, v[14:17], s[12:13] offset:24 glc
	s_waitcnt vmcnt(0)
	buffer_invl2
	buffer_wbinvl1_vol
	v_cmp_ne_u64_e32 vcc, v[4:5], v[16:17]
	s_and_saveexec_b64 s[14:15], vcc
	s_cbranch_execz .LBB14_122
; %bb.119:                              ;   in Loop: Header=BB14_4 Depth=1
	s_mov_b64 s[16:17], 0
.LBB14_120:                             ;   Parent Loop BB14_4 Depth=1
                                        ; =>  This Inner Loop Header: Depth=2
	s_sleep 1
	global_load_dwordx2 v[8:9], v3, s[12:13] offset:40
	global_load_dwordx2 v[14:15], v3, s[12:13]
	v_pk_mov_b32 v[16:17], v[4:5], v[4:5] op_sel:[0,1]
	s_waitcnt vmcnt(1)
	v_and_b32_e32 v2, v8, v16
	s_waitcnt vmcnt(0)
	v_mad_u64_u32 v[4:5], s[18:19], v2, 24, v[14:15]
	v_and_b32_e32 v1, v9, v17
	v_mov_b32_e32 v2, v5
	v_mad_u64_u32 v[8:9], s[18:19], v1, 24, v[2:3]
	v_mov_b32_e32 v5, v8
	global_load_dwordx2 v[14:15], v[4:5], off glc
	s_waitcnt vmcnt(0)
	global_atomic_cmpswap_x2 v[4:5], v3, v[14:17], s[12:13] offset:24 glc
	s_waitcnt vmcnt(0)
	buffer_invl2
	buffer_wbinvl1_vol
	v_cmp_eq_u64_e32 vcc, v[4:5], v[16:17]
	s_or_b64 s[16:17], vcc, s[16:17]
	s_andn2_b64 exec, exec, s[16:17]
	s_cbranch_execnz .LBB14_120
; %bb.121:                              ;   in Loop: Header=BB14_4 Depth=1
	s_or_b64 exec, exec, s[16:17]
.LBB14_122:                             ;   in Loop: Header=BB14_4 Depth=1
	s_or_b64 exec, exec, s[14:15]
.LBB14_123:                             ;   in Loop: Header=BB14_4 Depth=1
	s_or_b64 exec, exec, s[6:7]
	global_load_dwordx2 v[8:9], v3, s[12:13] offset:40
	global_load_dwordx4 v[16:19], v3, s[12:13]
	v_readfirstlane_b32 s14, v4
	v_readfirstlane_b32 s15, v5
	s_mov_b64 s[6:7], exec
	s_waitcnt vmcnt(1)
	v_readfirstlane_b32 s16, v8
	v_readfirstlane_b32 s17, v9
	s_and_b64 s[16:17], s[14:15], s[16:17]
	s_mul_i32 s5, s17, 24
	s_mul_hi_u32 s18, s16, 24
	s_mul_i32 s19, s16, 24
	s_add_i32 s5, s18, s5
	v_mov_b32_e32 v1, s5
	s_waitcnt vmcnt(0)
	v_add_co_u32_e32 v8, vcc, s19, v16
	v_addc_co_u32_e32 v9, vcc, v17, v1, vcc
	s_and_saveexec_b64 s[18:19], s[0:1]
	s_cbranch_execz .LBB14_125
; %bb.124:                              ;   in Loop: Header=BB14_4 Depth=1
	v_pk_mov_b32 v[4:5], s[6:7], s[6:7] op_sel:[0,1]
	global_store_dwordx4 v[8:9], v[4:7], off offset:8
.LBB14_125:                             ;   in Loop: Header=BB14_4 Depth=1
	s_or_b64 exec, exec, s[18:19]
	s_lshl_b64 s[6:7], s[16:17], 12
	v_mov_b32_e32 v1, s7
	v_add_co_u32_e32 v4, vcc, s6, v18
	v_addc_co_u32_e32 v1, vcc, v19, v1, vcc
	v_and_or_b32 v12, v12, s28, 32
	v_mov_b32_e32 v14, v3
	v_mov_b32_e32 v15, v3
	v_readfirstlane_b32 s16, v4
	v_readfirstlane_b32 s17, v1
	s_mov_b32 s6, s4
	s_mov_b32 s7, s4
	s_mov_b32 s5, s4
	s_nop 1
	global_store_dwordx4 v37, v[12:15], s[16:17]
	s_nop 0
	v_pk_mov_b32 v[14:15], s[6:7], s[6:7] op_sel:[0,1]
	v_pk_mov_b32 v[12:13], s[4:5], s[4:5] op_sel:[0,1]
	global_store_dwordx4 v37, v[12:15], s[16:17] offset:16
	global_store_dwordx4 v37, v[12:15], s[16:17] offset:32
	global_store_dwordx4 v37, v[12:15], s[16:17] offset:48
	s_and_saveexec_b64 s[6:7], s[0:1]
	s_cbranch_execz .LBB14_133
; %bb.126:                              ;   in Loop: Header=BB14_4 Depth=1
	global_load_dwordx2 v[20:21], v3, s[12:13] offset:32 glc
	global_load_dwordx2 v[12:13], v3, s[12:13] offset:40
	v_mov_b32_e32 v18, s14
	v_mov_b32_e32 v19, s15
	s_waitcnt vmcnt(0)
	v_readfirstlane_b32 s16, v12
	v_readfirstlane_b32 s17, v13
	s_and_b64 s[16:17], s[16:17], s[14:15]
	s_mul_i32 s5, s17, 24
	s_mul_hi_u32 s17, s16, 24
	s_mul_i32 s16, s16, 24
	s_add_i32 s5, s17, s5
	v_mov_b32_e32 v2, s5
	v_add_co_u32_e32 v16, vcc, s16, v16
	v_addc_co_u32_e32 v17, vcc, v17, v2, vcc
	global_store_dwordx2 v[16:17], v[20:21], off
	buffer_wbl2
	s_waitcnt vmcnt(0)
	global_atomic_cmpswap_x2 v[14:15], v3, v[18:21], s[12:13] offset:32 glc
	s_waitcnt vmcnt(0)
	v_cmp_ne_u64_e32 vcc, v[14:15], v[20:21]
	s_and_saveexec_b64 s[16:17], vcc
	s_cbranch_execz .LBB14_129
; %bb.127:                              ;   in Loop: Header=BB14_4 Depth=1
	s_mov_b64 s[18:19], 0
.LBB14_128:                             ;   Parent Loop BB14_4 Depth=1
                                        ; =>  This Inner Loop Header: Depth=2
	s_sleep 1
	global_store_dwordx2 v[16:17], v[14:15], off
	v_mov_b32_e32 v12, s14
	v_mov_b32_e32 v13, s15
	buffer_wbl2
	s_waitcnt vmcnt(0)
	global_atomic_cmpswap_x2 v[12:13], v3, v[12:15], s[12:13] offset:32 glc
	s_waitcnt vmcnt(0)
	v_cmp_eq_u64_e32 vcc, v[12:13], v[14:15]
	s_or_b64 s[18:19], vcc, s[18:19]
	v_pk_mov_b32 v[14:15], v[12:13], v[12:13] op_sel:[0,1]
	s_andn2_b64 exec, exec, s[18:19]
	s_cbranch_execnz .LBB14_128
.LBB14_129:                             ;   in Loop: Header=BB14_4 Depth=1
	s_or_b64 exec, exec, s[16:17]
	global_load_dwordx2 v[12:13], v3, s[12:13] offset:16
	s_mov_b64 s[18:19], exec
	v_mbcnt_lo_u32_b32 v2, s18, 0
	v_mbcnt_hi_u32_b32 v2, s19, v2
	v_cmp_eq_u32_e32 vcc, 0, v2
	s_and_saveexec_b64 s[16:17], vcc
	s_cbranch_execz .LBB14_131
; %bb.130:                              ;   in Loop: Header=BB14_4 Depth=1
	s_bcnt1_i32_b64 s5, s[18:19]
	v_mov_b32_e32 v2, s5
	buffer_wbl2
	s_waitcnt vmcnt(0)
	global_atomic_add_x2 v[12:13], v[2:3], off offset:8
.LBB14_131:                             ;   in Loop: Header=BB14_4 Depth=1
	s_or_b64 exec, exec, s[16:17]
	s_waitcnt vmcnt(0)
	global_load_dwordx2 v[14:15], v[12:13], off offset:16
	s_waitcnt vmcnt(0)
	v_cmp_eq_u64_e32 vcc, 0, v[14:15]
	s_cbranch_vccnz .LBB14_133
; %bb.132:                              ;   in Loop: Header=BB14_4 Depth=1
	global_load_dword v2, v[12:13], off offset:24
	buffer_wbl2
	s_waitcnt vmcnt(0)
	global_store_dwordx2 v[14:15], v[2:3], off
	v_and_b32_e32 v2, 0xffffff, v2
	v_readfirstlane_b32 m0, v2
	s_sendmsg sendmsg(MSG_INTERRUPT)
.LBB14_133:                             ;   in Loop: Header=BB14_4 Depth=1
	s_or_b64 exec, exec, s[6:7]
	v_add_co_u32_e32 v4, vcc, v4, v37
	v_addc_co_u32_e32 v5, vcc, 0, v1, vcc
	s_branch .LBB14_137
.LBB14_134:                             ;   in Loop: Header=BB14_137 Depth=2
	s_or_b64 exec, exec, s[6:7]
	v_readfirstlane_b32 s5, v1
	s_cmp_eq_u32 s5, 0
	s_cbranch_scc1 .LBB14_136
; %bb.135:                              ;   in Loop: Header=BB14_137 Depth=2
	s_sleep 1
	s_cbranch_execnz .LBB14_137
	s_branch .LBB14_139
.LBB14_136:                             ;   in Loop: Header=BB14_4 Depth=1
	s_branch .LBB14_139
.LBB14_137:                             ;   Parent Loop BB14_4 Depth=1
                                        ; =>  This Inner Loop Header: Depth=2
	v_mov_b32_e32 v1, 1
	s_and_saveexec_b64 s[6:7], s[0:1]
	s_cbranch_execz .LBB14_134
; %bb.138:                              ;   in Loop: Header=BB14_137 Depth=2
	global_load_dword v1, v[8:9], off offset:20 glc
	s_waitcnt vmcnt(0)
	buffer_invl2
	buffer_wbinvl1_vol
	v_and_b32_e32 v1, 1, v1
	s_branch .LBB14_134
.LBB14_139:                             ;   in Loop: Header=BB14_4 Depth=1
	global_load_dwordx2 v[14:15], v[4:5], off
	s_and_saveexec_b64 s[6:7], s[0:1]
	s_cbranch_execz .LBB14_143
; %bb.140:                              ;   in Loop: Header=BB14_4 Depth=1
	global_load_dwordx2 v[4:5], v3, s[12:13] offset:40
	global_load_dwordx2 v[8:9], v3, s[12:13] offset:24 glc
	global_load_dwordx2 v[12:13], v3, s[12:13]
	v_mov_b32_e32 v1, s15
	s_waitcnt vmcnt(2)
	v_add_co_u32_e32 v2, vcc, 1, v4
	v_addc_co_u32_e32 v19, vcc, 0, v5, vcc
	v_add_co_u32_e32 v16, vcc, s14, v2
	v_addc_co_u32_e32 v17, vcc, v19, v1, vcc
	v_cmp_eq_u64_e32 vcc, 0, v[16:17]
	v_cndmask_b32_e32 v17, v17, v19, vcc
	v_cndmask_b32_e32 v16, v16, v2, vcc
	v_and_b32_e32 v1, v17, v5
	v_and_b32_e32 v2, v16, v4
	v_mul_lo_u32 v1, v1, 24
	v_mul_hi_u32 v4, v2, 24
	v_mul_lo_u32 v2, v2, 24
	v_add_u32_e32 v1, v4, v1
	s_waitcnt vmcnt(0)
	v_add_co_u32_e32 v4, vcc, v12, v2
	v_addc_co_u32_e32 v5, vcc, v13, v1, vcc
	v_mov_b32_e32 v18, v8
	global_store_dwordx2 v[4:5], v[8:9], off
	v_mov_b32_e32 v19, v9
	buffer_wbl2
	s_waitcnt vmcnt(0)
	global_atomic_cmpswap_x2 v[18:19], v3, v[16:19], s[12:13] offset:24 glc
	s_waitcnt vmcnt(0)
	v_cmp_ne_u64_e32 vcc, v[18:19], v[8:9]
	s_and_b64 exec, exec, vcc
	s_cbranch_execz .LBB14_143
; %bb.141:                              ;   in Loop: Header=BB14_4 Depth=1
	s_mov_b64 s[0:1], 0
.LBB14_142:                             ;   Parent Loop BB14_4 Depth=1
                                        ; =>  This Inner Loop Header: Depth=2
	s_sleep 1
	global_store_dwordx2 v[4:5], v[18:19], off
	buffer_wbl2
	s_waitcnt vmcnt(0)
	global_atomic_cmpswap_x2 v[8:9], v3, v[16:19], s[12:13] offset:24 glc
	s_waitcnt vmcnt(0)
	v_cmp_eq_u64_e32 vcc, v[8:9], v[18:19]
	s_or_b64 s[0:1], vcc, s[0:1]
	v_pk_mov_b32 v[18:19], v[8:9], v[8:9] op_sel:[0,1]
	s_andn2_b64 exec, exec, s[0:1]
	s_cbranch_execnz .LBB14_142
.LBB14_143:                             ;   in Loop: Header=BB14_4 Depth=1
	s_or_b64 exec, exec, s[6:7]
.LBB14_144:                             ;   in Loop: Header=BB14_4 Depth=1
	v_readfirstlane_b32 s0, v36
	v_cmp_eq_u32_e64 s[0:1], s0, v36
	v_pk_mov_b32 v[4:5], 0, 0
	s_and_saveexec_b64 s[6:7], s[0:1]
	s_cbranch_execz .LBB14_150
; %bb.145:                              ;   in Loop: Header=BB14_4 Depth=1
	global_load_dwordx2 v[18:19], v3, s[12:13] offset:24 glc
	s_waitcnt vmcnt(0)
	buffer_invl2
	buffer_wbinvl1_vol
	global_load_dwordx2 v[4:5], v3, s[12:13] offset:40
	global_load_dwordx2 v[8:9], v3, s[12:13]
	s_waitcnt vmcnt(1)
	v_and_b32_e32 v1, v4, v18
	v_and_b32_e32 v2, v5, v19
	v_mul_lo_u32 v2, v2, 24
	v_mul_hi_u32 v4, v1, 24
	v_mul_lo_u32 v1, v1, 24
	v_add_u32_e32 v2, v4, v2
	s_waitcnt vmcnt(0)
	v_add_co_u32_e32 v4, vcc, v8, v1
	v_addc_co_u32_e32 v5, vcc, v9, v2, vcc
	global_load_dwordx2 v[16:17], v[4:5], off glc
	s_waitcnt vmcnt(0)
	global_atomic_cmpswap_x2 v[4:5], v3, v[16:19], s[12:13] offset:24 glc
	s_waitcnt vmcnt(0)
	buffer_invl2
	buffer_wbinvl1_vol
	v_cmp_ne_u64_e32 vcc, v[4:5], v[18:19]
	s_and_saveexec_b64 s[14:15], vcc
	s_cbranch_execz .LBB14_149
; %bb.146:                              ;   in Loop: Header=BB14_4 Depth=1
	s_mov_b64 s[16:17], 0
.LBB14_147:                             ;   Parent Loop BB14_4 Depth=1
                                        ; =>  This Inner Loop Header: Depth=2
	s_sleep 1
	global_load_dwordx2 v[8:9], v3, s[12:13] offset:40
	global_load_dwordx2 v[12:13], v3, s[12:13]
	v_pk_mov_b32 v[18:19], v[4:5], v[4:5] op_sel:[0,1]
	s_waitcnt vmcnt(1)
	v_and_b32_e32 v2, v8, v18
	s_waitcnt vmcnt(0)
	v_mad_u64_u32 v[4:5], s[18:19], v2, 24, v[12:13]
	v_and_b32_e32 v1, v9, v19
	v_mov_b32_e32 v2, v5
	v_mad_u64_u32 v[8:9], s[18:19], v1, 24, v[2:3]
	v_mov_b32_e32 v5, v8
	global_load_dwordx2 v[16:17], v[4:5], off glc
	s_waitcnt vmcnt(0)
	global_atomic_cmpswap_x2 v[4:5], v3, v[16:19], s[12:13] offset:24 glc
	s_waitcnt vmcnt(0)
	buffer_invl2
	buffer_wbinvl1_vol
	v_cmp_eq_u64_e32 vcc, v[4:5], v[18:19]
	s_or_b64 s[16:17], vcc, s[16:17]
	s_andn2_b64 exec, exec, s[16:17]
	s_cbranch_execnz .LBB14_147
; %bb.148:                              ;   in Loop: Header=BB14_4 Depth=1
	s_or_b64 exec, exec, s[16:17]
.LBB14_149:                             ;   in Loop: Header=BB14_4 Depth=1
	s_or_b64 exec, exec, s[14:15]
.LBB14_150:                             ;   in Loop: Header=BB14_4 Depth=1
	s_or_b64 exec, exec, s[6:7]
	global_load_dwordx2 v[8:9], v3, s[12:13] offset:40
	global_load_dwordx4 v[18:21], v3, s[12:13]
	v_readfirstlane_b32 s14, v4
	v_readfirstlane_b32 s15, v5
	s_mov_b64 s[6:7], exec
	s_waitcnt vmcnt(1)
	v_readfirstlane_b32 s16, v8
	v_readfirstlane_b32 s17, v9
	s_and_b64 s[16:17], s[14:15], s[16:17]
	s_mul_i32 s5, s17, 24
	s_mul_hi_u32 s18, s16, 24
	s_mul_i32 s19, s16, 24
	s_add_i32 s5, s18, s5
	v_mov_b32_e32 v1, s5
	s_waitcnt vmcnt(0)
	v_add_co_u32_e32 v8, vcc, s19, v18
	v_addc_co_u32_e32 v9, vcc, v19, v1, vcc
	s_and_saveexec_b64 s[18:19], s[0:1]
	s_cbranch_execz .LBB14_152
; %bb.151:                              ;   in Loop: Header=BB14_4 Depth=1
	v_pk_mov_b32 v[4:5], s[6:7], s[6:7] op_sel:[0,1]
	global_store_dwordx4 v[8:9], v[4:7], off offset:8
.LBB14_152:                             ;   in Loop: Header=BB14_4 Depth=1
	s_or_b64 exec, exec, s[18:19]
	s_lshl_b64 s[6:7], s[16:17], 12
	v_mov_b32_e32 v1, s7
	v_add_co_u32_e32 v4, vcc, s6, v20
	v_addc_co_u32_e32 v1, vcc, v21, v1, vcc
	v_and_or_b32 v14, v14, s28, 32
	v_mov_b32_e32 v16, s27
	v_mov_b32_e32 v17, v3
	v_readfirstlane_b32 s16, v4
	v_readfirstlane_b32 s17, v1
	s_mov_b32 s6, s4
	s_mov_b32 s7, s4
	;; [unrolled: 1-line block ×3, first 2 shown]
	s_nop 1
	global_store_dwordx4 v37, v[14:17], s[16:17]
	s_nop 0
	v_pk_mov_b32 v[14:15], s[6:7], s[6:7] op_sel:[0,1]
	v_pk_mov_b32 v[12:13], s[4:5], s[4:5] op_sel:[0,1]
	global_store_dwordx4 v37, v[12:15], s[16:17] offset:16
	global_store_dwordx4 v37, v[12:15], s[16:17] offset:32
	;; [unrolled: 1-line block ×3, first 2 shown]
	s_and_saveexec_b64 s[6:7], s[0:1]
	s_cbranch_execz .LBB14_160
; %bb.153:                              ;   in Loop: Header=BB14_4 Depth=1
	global_load_dwordx2 v[22:23], v3, s[12:13] offset:32 glc
	global_load_dwordx2 v[12:13], v3, s[12:13] offset:40
	v_mov_b32_e32 v20, s14
	v_mov_b32_e32 v21, s15
	s_waitcnt vmcnt(0)
	v_readfirstlane_b32 s16, v12
	v_readfirstlane_b32 s17, v13
	s_and_b64 s[16:17], s[16:17], s[14:15]
	s_mul_i32 s5, s17, 24
	s_mul_hi_u32 s17, s16, 24
	s_mul_i32 s16, s16, 24
	s_add_i32 s5, s17, s5
	v_mov_b32_e32 v2, s5
	v_add_co_u32_e32 v16, vcc, s16, v18
	v_addc_co_u32_e32 v17, vcc, v19, v2, vcc
	global_store_dwordx2 v[16:17], v[22:23], off
	buffer_wbl2
	s_waitcnt vmcnt(0)
	global_atomic_cmpswap_x2 v[14:15], v3, v[20:23], s[12:13] offset:32 glc
	s_waitcnt vmcnt(0)
	v_cmp_ne_u64_e32 vcc, v[14:15], v[22:23]
	s_and_saveexec_b64 s[16:17], vcc
	s_cbranch_execz .LBB14_156
; %bb.154:                              ;   in Loop: Header=BB14_4 Depth=1
	s_mov_b64 s[18:19], 0
.LBB14_155:                             ;   Parent Loop BB14_4 Depth=1
                                        ; =>  This Inner Loop Header: Depth=2
	s_sleep 1
	global_store_dwordx2 v[16:17], v[14:15], off
	v_mov_b32_e32 v12, s14
	v_mov_b32_e32 v13, s15
	buffer_wbl2
	s_waitcnt vmcnt(0)
	global_atomic_cmpswap_x2 v[12:13], v3, v[12:15], s[12:13] offset:32 glc
	s_waitcnt vmcnt(0)
	v_cmp_eq_u64_e32 vcc, v[12:13], v[14:15]
	s_or_b64 s[18:19], vcc, s[18:19]
	v_pk_mov_b32 v[14:15], v[12:13], v[12:13] op_sel:[0,1]
	s_andn2_b64 exec, exec, s[18:19]
	s_cbranch_execnz .LBB14_155
.LBB14_156:                             ;   in Loop: Header=BB14_4 Depth=1
	s_or_b64 exec, exec, s[16:17]
	global_load_dwordx2 v[12:13], v3, s[12:13] offset:16
	s_mov_b64 s[18:19], exec
	v_mbcnt_lo_u32_b32 v2, s18, 0
	v_mbcnt_hi_u32_b32 v2, s19, v2
	v_cmp_eq_u32_e32 vcc, 0, v2
	s_and_saveexec_b64 s[16:17], vcc
	s_cbranch_execz .LBB14_158
; %bb.157:                              ;   in Loop: Header=BB14_4 Depth=1
	s_bcnt1_i32_b64 s5, s[18:19]
	v_mov_b32_e32 v2, s5
	buffer_wbl2
	s_waitcnt vmcnt(0)
	global_atomic_add_x2 v[12:13], v[2:3], off offset:8
.LBB14_158:                             ;   in Loop: Header=BB14_4 Depth=1
	s_or_b64 exec, exec, s[16:17]
	s_waitcnt vmcnt(0)
	global_load_dwordx2 v[14:15], v[12:13], off offset:16
	s_waitcnt vmcnt(0)
	v_cmp_eq_u64_e32 vcc, 0, v[14:15]
	s_cbranch_vccnz .LBB14_160
; %bb.159:                              ;   in Loop: Header=BB14_4 Depth=1
	global_load_dword v2, v[12:13], off offset:24
	buffer_wbl2
	s_waitcnt vmcnt(0)
	global_store_dwordx2 v[14:15], v[2:3], off
	v_and_b32_e32 v2, 0xffffff, v2
	v_readfirstlane_b32 m0, v2
	s_sendmsg sendmsg(MSG_INTERRUPT)
.LBB14_160:                             ;   in Loop: Header=BB14_4 Depth=1
	s_or_b64 exec, exec, s[6:7]
	v_add_co_u32_e32 v4, vcc, v4, v37
	v_addc_co_u32_e32 v5, vcc, 0, v1, vcc
	s_branch .LBB14_164
.LBB14_161:                             ;   in Loop: Header=BB14_164 Depth=2
	s_or_b64 exec, exec, s[6:7]
	v_readfirstlane_b32 s5, v1
	s_cmp_eq_u32 s5, 0
	s_cbranch_scc1 .LBB14_163
; %bb.162:                              ;   in Loop: Header=BB14_164 Depth=2
	s_sleep 1
	s_cbranch_execnz .LBB14_164
	s_branch .LBB14_166
.LBB14_163:                             ;   in Loop: Header=BB14_4 Depth=1
	s_branch .LBB14_166
.LBB14_164:                             ;   Parent Loop BB14_4 Depth=1
                                        ; =>  This Inner Loop Header: Depth=2
	v_mov_b32_e32 v1, 1
	s_and_saveexec_b64 s[6:7], s[0:1]
	s_cbranch_execz .LBB14_161
; %bb.165:                              ;   in Loop: Header=BB14_164 Depth=2
	global_load_dword v1, v[8:9], off offset:20 glc
	s_waitcnt vmcnt(0)
	buffer_invl2
	buffer_wbinvl1_vol
	v_and_b32_e32 v1, 1, v1
	s_branch .LBB14_161
.LBB14_166:                             ;   in Loop: Header=BB14_4 Depth=1
	global_load_dwordx2 v[12:13], v[4:5], off
	s_and_saveexec_b64 s[6:7], s[0:1]
	s_cbranch_execz .LBB14_170
; %bb.167:                              ;   in Loop: Header=BB14_4 Depth=1
	global_load_dwordx2 v[4:5], v3, s[12:13] offset:40
	global_load_dwordx2 v[8:9], v3, s[12:13] offset:24 glc
	global_load_dwordx2 v[18:19], v3, s[12:13]
	v_mov_b32_e32 v1, s15
	s_waitcnt vmcnt(2)
	v_add_co_u32_e32 v2, vcc, 1, v4
	v_addc_co_u32_e32 v17, vcc, 0, v5, vcc
	v_add_co_u32_e32 v14, vcc, s14, v2
	v_addc_co_u32_e32 v15, vcc, v17, v1, vcc
	v_cmp_eq_u64_e32 vcc, 0, v[14:15]
	v_cndmask_b32_e32 v15, v15, v17, vcc
	v_cndmask_b32_e32 v14, v14, v2, vcc
	v_and_b32_e32 v1, v15, v5
	v_and_b32_e32 v2, v14, v4
	v_mul_lo_u32 v1, v1, 24
	v_mul_hi_u32 v4, v2, 24
	v_mul_lo_u32 v2, v2, 24
	v_add_u32_e32 v1, v4, v1
	s_waitcnt vmcnt(0)
	v_add_co_u32_e32 v4, vcc, v18, v2
	v_addc_co_u32_e32 v5, vcc, v19, v1, vcc
	v_mov_b32_e32 v16, v8
	global_store_dwordx2 v[4:5], v[8:9], off
	v_mov_b32_e32 v17, v9
	buffer_wbl2
	s_waitcnt vmcnt(0)
	global_atomic_cmpswap_x2 v[16:17], v3, v[14:17], s[12:13] offset:24 glc
	s_waitcnt vmcnt(0)
	v_cmp_ne_u64_e32 vcc, v[16:17], v[8:9]
	s_and_b64 exec, exec, vcc
	s_cbranch_execz .LBB14_170
; %bb.168:                              ;   in Loop: Header=BB14_4 Depth=1
	s_mov_b64 s[0:1], 0
.LBB14_169:                             ;   Parent Loop BB14_4 Depth=1
                                        ; =>  This Inner Loop Header: Depth=2
	s_sleep 1
	global_store_dwordx2 v[4:5], v[16:17], off
	buffer_wbl2
	s_waitcnt vmcnt(0)
	global_atomic_cmpswap_x2 v[8:9], v3, v[14:17], s[12:13] offset:24 glc
	s_waitcnt vmcnt(0)
	v_cmp_eq_u64_e32 vcc, v[8:9], v[16:17]
	s_or_b64 s[0:1], vcc, s[0:1]
	v_pk_mov_b32 v[16:17], v[8:9], v[8:9] op_sel:[0,1]
	s_andn2_b64 exec, exec, s[0:1]
	s_cbranch_execnz .LBB14_169
.LBB14_170:                             ;   in Loop: Header=BB14_4 Depth=1
	s_or_b64 exec, exec, s[6:7]
	v_readfirstlane_b32 s0, v36
	v_cmp_eq_u32_e64 s[0:1], s0, v36
	v_pk_mov_b32 v[4:5], 0, 0
	s_and_saveexec_b64 s[6:7], s[0:1]
	s_cbranch_execz .LBB14_176
; %bb.171:                              ;   in Loop: Header=BB14_4 Depth=1
	global_load_dwordx2 v[16:17], v3, s[12:13] offset:24 glc
	s_waitcnt vmcnt(0)
	buffer_invl2
	buffer_wbinvl1_vol
	global_load_dwordx2 v[4:5], v3, s[12:13] offset:40
	global_load_dwordx2 v[8:9], v3, s[12:13]
	s_waitcnt vmcnt(1)
	v_and_b32_e32 v1, v4, v16
	v_and_b32_e32 v2, v5, v17
	v_mul_lo_u32 v2, v2, 24
	v_mul_hi_u32 v4, v1, 24
	v_mul_lo_u32 v1, v1, 24
	v_add_u32_e32 v2, v4, v2
	s_waitcnt vmcnt(0)
	v_add_co_u32_e32 v4, vcc, v8, v1
	v_addc_co_u32_e32 v5, vcc, v9, v2, vcc
	global_load_dwordx2 v[14:15], v[4:5], off glc
	s_waitcnt vmcnt(0)
	global_atomic_cmpswap_x2 v[4:5], v3, v[14:17], s[12:13] offset:24 glc
	s_waitcnt vmcnt(0)
	buffer_invl2
	buffer_wbinvl1_vol
	v_cmp_ne_u64_e32 vcc, v[4:5], v[16:17]
	s_and_saveexec_b64 s[14:15], vcc
	s_cbranch_execz .LBB14_175
; %bb.172:                              ;   in Loop: Header=BB14_4 Depth=1
	s_mov_b64 s[16:17], 0
.LBB14_173:                             ;   Parent Loop BB14_4 Depth=1
                                        ; =>  This Inner Loop Header: Depth=2
	s_sleep 1
	global_load_dwordx2 v[8:9], v3, s[12:13] offset:40
	global_load_dwordx2 v[14:15], v3, s[12:13]
	v_pk_mov_b32 v[16:17], v[4:5], v[4:5] op_sel:[0,1]
	s_waitcnt vmcnt(1)
	v_and_b32_e32 v2, v8, v16
	s_waitcnt vmcnt(0)
	v_mad_u64_u32 v[4:5], s[18:19], v2, 24, v[14:15]
	v_and_b32_e32 v1, v9, v17
	v_mov_b32_e32 v2, v5
	v_mad_u64_u32 v[8:9], s[18:19], v1, 24, v[2:3]
	v_mov_b32_e32 v5, v8
	global_load_dwordx2 v[14:15], v[4:5], off glc
	s_waitcnt vmcnt(0)
	global_atomic_cmpswap_x2 v[4:5], v3, v[14:17], s[12:13] offset:24 glc
	s_waitcnt vmcnt(0)
	buffer_invl2
	buffer_wbinvl1_vol
	v_cmp_eq_u64_e32 vcc, v[4:5], v[16:17]
	s_or_b64 s[16:17], vcc, s[16:17]
	s_andn2_b64 exec, exec, s[16:17]
	s_cbranch_execnz .LBB14_173
; %bb.174:                              ;   in Loop: Header=BB14_4 Depth=1
	s_or_b64 exec, exec, s[16:17]
.LBB14_175:                             ;   in Loop: Header=BB14_4 Depth=1
	s_or_b64 exec, exec, s[14:15]
.LBB14_176:                             ;   in Loop: Header=BB14_4 Depth=1
	s_or_b64 exec, exec, s[6:7]
	global_load_dwordx2 v[8:9], v3, s[12:13] offset:40
	global_load_dwordx4 v[16:19], v3, s[12:13]
	v_readfirstlane_b32 s14, v4
	v_readfirstlane_b32 s15, v5
	s_mov_b64 s[6:7], exec
	s_waitcnt vmcnt(1)
	v_readfirstlane_b32 s16, v8
	v_readfirstlane_b32 s17, v9
	s_and_b64 s[16:17], s[14:15], s[16:17]
	s_mul_i32 s5, s17, 24
	s_mul_hi_u32 s18, s16, 24
	s_mul_i32 s19, s16, 24
	s_add_i32 s5, s18, s5
	v_mov_b32_e32 v1, s5
	s_waitcnt vmcnt(0)
	v_add_co_u32_e32 v8, vcc, s19, v16
	v_addc_co_u32_e32 v9, vcc, v17, v1, vcc
	s_and_saveexec_b64 s[18:19], s[0:1]
	s_cbranch_execz .LBB14_178
; %bb.177:                              ;   in Loop: Header=BB14_4 Depth=1
	v_pk_mov_b32 v[4:5], s[6:7], s[6:7] op_sel:[0,1]
	global_store_dwordx4 v[8:9], v[4:7], off offset:8
.LBB14_178:                             ;   in Loop: Header=BB14_4 Depth=1
	s_or_b64 exec, exec, s[18:19]
	s_lshl_b64 s[6:7], s[16:17], 12
	v_mov_b32_e32 v1, s7
	v_add_co_u32_e32 v4, vcc, s6, v18
	v_addc_co_u32_e32 v1, vcc, v19, v1, vcc
	v_and_b32_e32 v14, 0xffff, v11
	v_and_or_b32 v12, v12, s28, 32
	v_mov_b32_e32 v15, v3
	v_readfirstlane_b32 s16, v4
	v_readfirstlane_b32 s17, v1
	s_mov_b32 s6, s4
	s_mov_b32 s7, s4
	;; [unrolled: 1-line block ×3, first 2 shown]
	s_nop 1
	global_store_dwordx4 v37, v[12:15], s[16:17]
	s_nop 0
	v_pk_mov_b32 v[14:15], s[6:7], s[6:7] op_sel:[0,1]
	v_pk_mov_b32 v[12:13], s[4:5], s[4:5] op_sel:[0,1]
	global_store_dwordx4 v37, v[12:15], s[16:17] offset:16
	global_store_dwordx4 v37, v[12:15], s[16:17] offset:32
	;; [unrolled: 1-line block ×3, first 2 shown]
	s_and_saveexec_b64 s[6:7], s[0:1]
	s_cbranch_execz .LBB14_186
; %bb.179:                              ;   in Loop: Header=BB14_4 Depth=1
	global_load_dwordx2 v[20:21], v3, s[12:13] offset:32 glc
	global_load_dwordx2 v[12:13], v3, s[12:13] offset:40
	v_mov_b32_e32 v18, s14
	v_mov_b32_e32 v19, s15
	s_waitcnt vmcnt(0)
	v_readfirstlane_b32 s16, v12
	v_readfirstlane_b32 s17, v13
	s_and_b64 s[16:17], s[16:17], s[14:15]
	s_mul_i32 s5, s17, 24
	s_mul_hi_u32 s17, s16, 24
	s_mul_i32 s16, s16, 24
	s_add_i32 s5, s17, s5
	v_mov_b32_e32 v2, s5
	v_add_co_u32_e32 v16, vcc, s16, v16
	v_addc_co_u32_e32 v17, vcc, v17, v2, vcc
	global_store_dwordx2 v[16:17], v[20:21], off
	buffer_wbl2
	s_waitcnt vmcnt(0)
	global_atomic_cmpswap_x2 v[14:15], v3, v[18:21], s[12:13] offset:32 glc
	s_waitcnt vmcnt(0)
	v_cmp_ne_u64_e32 vcc, v[14:15], v[20:21]
	s_and_saveexec_b64 s[16:17], vcc
	s_cbranch_execz .LBB14_182
; %bb.180:                              ;   in Loop: Header=BB14_4 Depth=1
	s_mov_b64 s[18:19], 0
.LBB14_181:                             ;   Parent Loop BB14_4 Depth=1
                                        ; =>  This Inner Loop Header: Depth=2
	s_sleep 1
	global_store_dwordx2 v[16:17], v[14:15], off
	v_mov_b32_e32 v12, s14
	v_mov_b32_e32 v13, s15
	buffer_wbl2
	s_waitcnt vmcnt(0)
	global_atomic_cmpswap_x2 v[12:13], v3, v[12:15], s[12:13] offset:32 glc
	s_waitcnt vmcnt(0)
	v_cmp_eq_u64_e32 vcc, v[12:13], v[14:15]
	s_or_b64 s[18:19], vcc, s[18:19]
	v_pk_mov_b32 v[14:15], v[12:13], v[12:13] op_sel:[0,1]
	s_andn2_b64 exec, exec, s[18:19]
	s_cbranch_execnz .LBB14_181
.LBB14_182:                             ;   in Loop: Header=BB14_4 Depth=1
	s_or_b64 exec, exec, s[16:17]
	global_load_dwordx2 v[12:13], v3, s[12:13] offset:16
	s_mov_b64 s[18:19], exec
	v_mbcnt_lo_u32_b32 v2, s18, 0
	v_mbcnt_hi_u32_b32 v2, s19, v2
	v_cmp_eq_u32_e32 vcc, 0, v2
	s_and_saveexec_b64 s[16:17], vcc
	s_cbranch_execz .LBB14_184
; %bb.183:                              ;   in Loop: Header=BB14_4 Depth=1
	s_bcnt1_i32_b64 s5, s[18:19]
	v_mov_b32_e32 v2, s5
	buffer_wbl2
	s_waitcnt vmcnt(0)
	global_atomic_add_x2 v[12:13], v[2:3], off offset:8
.LBB14_184:                             ;   in Loop: Header=BB14_4 Depth=1
	s_or_b64 exec, exec, s[16:17]
	s_waitcnt vmcnt(0)
	global_load_dwordx2 v[14:15], v[12:13], off offset:16
	s_waitcnt vmcnt(0)
	v_cmp_eq_u64_e32 vcc, 0, v[14:15]
	s_cbranch_vccnz .LBB14_186
; %bb.185:                              ;   in Loop: Header=BB14_4 Depth=1
	global_load_dword v2, v[12:13], off offset:24
	buffer_wbl2
	s_waitcnt vmcnt(0)
	global_store_dwordx2 v[14:15], v[2:3], off
	v_and_b32_e32 v2, 0xffffff, v2
	v_readfirstlane_b32 m0, v2
	s_sendmsg sendmsg(MSG_INTERRUPT)
.LBB14_186:                             ;   in Loop: Header=BB14_4 Depth=1
	s_or_b64 exec, exec, s[6:7]
	v_add_co_u32_e32 v4, vcc, v4, v37
	v_addc_co_u32_e32 v5, vcc, 0, v1, vcc
	s_branch .LBB14_190
.LBB14_187:                             ;   in Loop: Header=BB14_190 Depth=2
	s_or_b64 exec, exec, s[6:7]
	v_readfirstlane_b32 s5, v1
	s_cmp_eq_u32 s5, 0
	s_cbranch_scc1 .LBB14_189
; %bb.188:                              ;   in Loop: Header=BB14_190 Depth=2
	s_sleep 1
	s_cbranch_execnz .LBB14_190
	s_branch .LBB14_192
.LBB14_189:                             ;   in Loop: Header=BB14_4 Depth=1
	s_branch .LBB14_192
.LBB14_190:                             ;   Parent Loop BB14_4 Depth=1
                                        ; =>  This Inner Loop Header: Depth=2
	v_mov_b32_e32 v1, 1
	s_and_saveexec_b64 s[6:7], s[0:1]
	s_cbranch_execz .LBB14_187
; %bb.191:                              ;   in Loop: Header=BB14_190 Depth=2
	global_load_dword v1, v[8:9], off offset:20 glc
	s_waitcnt vmcnt(0)
	buffer_invl2
	buffer_wbinvl1_vol
	v_and_b32_e32 v1, 1, v1
	s_branch .LBB14_187
.LBB14_192:                             ;   in Loop: Header=BB14_4 Depth=1
	global_load_dwordx2 v[8:9], v[4:5], off
	s_and_saveexec_b64 s[6:7], s[0:1]
	s_cbranch_execz .LBB14_196
; %bb.193:                              ;   in Loop: Header=BB14_4 Depth=1
	global_load_dwordx2 v[4:5], v3, s[12:13] offset:40
	global_load_dwordx2 v[16:17], v3, s[12:13] offset:24 glc
	global_load_dwordx2 v[18:19], v3, s[12:13]
	v_mov_b32_e32 v1, s15
	s_waitcnt vmcnt(2)
	v_add_co_u32_e32 v2, vcc, 1, v4
	v_addc_co_u32_e32 v11, vcc, 0, v5, vcc
	v_add_co_u32_e32 v12, vcc, s14, v2
	v_addc_co_u32_e32 v13, vcc, v11, v1, vcc
	v_cmp_eq_u64_e32 vcc, 0, v[12:13]
	v_cndmask_b32_e32 v13, v13, v11, vcc
	v_cndmask_b32_e32 v12, v12, v2, vcc
	v_and_b32_e32 v1, v13, v5
	v_and_b32_e32 v2, v12, v4
	v_mul_lo_u32 v1, v1, 24
	v_mul_hi_u32 v4, v2, 24
	v_mul_lo_u32 v2, v2, 24
	v_add_u32_e32 v1, v4, v1
	s_waitcnt vmcnt(0)
	v_add_co_u32_e32 v4, vcc, v18, v2
	v_addc_co_u32_e32 v5, vcc, v19, v1, vcc
	v_mov_b32_e32 v14, v16
	global_store_dwordx2 v[4:5], v[16:17], off
	v_mov_b32_e32 v15, v17
	buffer_wbl2
	s_waitcnt vmcnt(0)
	global_atomic_cmpswap_x2 v[14:15], v3, v[12:15], s[12:13] offset:24 glc
	s_waitcnt vmcnt(0)
	v_cmp_ne_u64_e32 vcc, v[14:15], v[16:17]
	s_and_b64 exec, exec, vcc
	s_cbranch_execz .LBB14_196
; %bb.194:                              ;   in Loop: Header=BB14_4 Depth=1
	s_mov_b64 s[0:1], 0
.LBB14_195:                             ;   Parent Loop BB14_4 Depth=1
                                        ; =>  This Inner Loop Header: Depth=2
	s_sleep 1
	global_store_dwordx2 v[4:5], v[14:15], off
	buffer_wbl2
	s_waitcnt vmcnt(0)
	global_atomic_cmpswap_x2 v[16:17], v3, v[12:15], s[12:13] offset:24 glc
	s_waitcnt vmcnt(0)
	v_cmp_eq_u64_e32 vcc, v[16:17], v[14:15]
	s_or_b64 s[0:1], vcc, s[0:1]
	v_pk_mov_b32 v[14:15], v[16:17], v[16:17] op_sel:[0,1]
	s_andn2_b64 exec, exec, s[0:1]
	s_cbranch_execnz .LBB14_195
.LBB14_196:                             ;   in Loop: Header=BB14_4 Depth=1
	s_or_b64 exec, exec, s[6:7]
	v_readfirstlane_b32 s0, v36
	v_cmp_eq_u32_e64 s[0:1], s0, v36
	v_pk_mov_b32 v[4:5], 0, 0
	s_and_saveexec_b64 s[6:7], s[0:1]
	s_cbranch_execz .LBB14_202
; %bb.197:                              ;   in Loop: Header=BB14_4 Depth=1
	global_load_dwordx2 v[14:15], v3, s[12:13] offset:24 glc
	s_waitcnt vmcnt(0)
	buffer_invl2
	buffer_wbinvl1_vol
	global_load_dwordx2 v[4:5], v3, s[12:13] offset:40
	global_load_dwordx2 v[12:13], v3, s[12:13]
	s_waitcnt vmcnt(1)
	v_and_b32_e32 v1, v4, v14
	v_and_b32_e32 v2, v5, v15
	v_mul_lo_u32 v2, v2, 24
	v_mul_hi_u32 v4, v1, 24
	v_mul_lo_u32 v1, v1, 24
	v_add_u32_e32 v2, v4, v2
	s_waitcnt vmcnt(0)
	v_add_co_u32_e32 v4, vcc, v12, v1
	v_addc_co_u32_e32 v5, vcc, v13, v2, vcc
	global_load_dwordx2 v[12:13], v[4:5], off glc
	s_waitcnt vmcnt(0)
	global_atomic_cmpswap_x2 v[4:5], v3, v[12:15], s[12:13] offset:24 glc
	s_waitcnt vmcnt(0)
	buffer_invl2
	buffer_wbinvl1_vol
	v_cmp_ne_u64_e32 vcc, v[4:5], v[14:15]
	s_and_saveexec_b64 s[14:15], vcc
	s_cbranch_execz .LBB14_201
; %bb.198:                              ;   in Loop: Header=BB14_4 Depth=1
	s_mov_b64 s[16:17], 0
.LBB14_199:                             ;   Parent Loop BB14_4 Depth=1
                                        ; =>  This Inner Loop Header: Depth=2
	s_sleep 1
	global_load_dwordx2 v[12:13], v3, s[12:13] offset:40
	global_load_dwordx2 v[16:17], v3, s[12:13]
	v_pk_mov_b32 v[14:15], v[4:5], v[4:5] op_sel:[0,1]
	s_waitcnt vmcnt(1)
	v_and_b32_e32 v2, v12, v14
	s_waitcnt vmcnt(0)
	v_mad_u64_u32 v[4:5], s[18:19], v2, 24, v[16:17]
	v_and_b32_e32 v1, v13, v15
	v_mov_b32_e32 v2, v5
	v_mad_u64_u32 v[12:13], s[18:19], v1, 24, v[2:3]
	v_mov_b32_e32 v5, v12
	global_load_dwordx2 v[12:13], v[4:5], off glc
	s_waitcnt vmcnt(0)
	global_atomic_cmpswap_x2 v[4:5], v3, v[12:15], s[12:13] offset:24 glc
	s_waitcnt vmcnt(0)
	buffer_invl2
	buffer_wbinvl1_vol
	v_cmp_eq_u64_e32 vcc, v[4:5], v[14:15]
	s_or_b64 s[16:17], vcc, s[16:17]
	s_andn2_b64 exec, exec, s[16:17]
	s_cbranch_execnz .LBB14_199
; %bb.200:                              ;   in Loop: Header=BB14_4 Depth=1
	s_or_b64 exec, exec, s[16:17]
.LBB14_201:                             ;   in Loop: Header=BB14_4 Depth=1
	s_or_b64 exec, exec, s[14:15]
.LBB14_202:                             ;   in Loop: Header=BB14_4 Depth=1
	s_or_b64 exec, exec, s[6:7]
	global_load_dwordx2 v[16:17], v3, s[12:13] offset:40
	global_load_dwordx4 v[12:15], v3, s[12:13]
	v_readfirstlane_b32 s14, v4
	v_readfirstlane_b32 s15, v5
	s_mov_b64 s[6:7], exec
	s_waitcnt vmcnt(1)
	v_readfirstlane_b32 s16, v16
	v_readfirstlane_b32 s17, v17
	s_and_b64 s[16:17], s[14:15], s[16:17]
	s_mul_i32 s5, s17, 24
	s_mul_hi_u32 s18, s16, 24
	s_mul_i32 s19, s16, 24
	s_add_i32 s5, s18, s5
	v_mov_b32_e32 v1, s5
	s_waitcnt vmcnt(0)
	v_add_co_u32_e32 v16, vcc, s19, v12
	v_addc_co_u32_e32 v17, vcc, v13, v1, vcc
	s_and_saveexec_b64 s[18:19], s[0:1]
	s_cbranch_execz .LBB14_204
; %bb.203:                              ;   in Loop: Header=BB14_4 Depth=1
	v_pk_mov_b32 v[4:5], s[6:7], s[6:7] op_sel:[0,1]
	global_store_dwordx4 v[16:17], v[4:7], off offset:8
.LBB14_204:                             ;   in Loop: Header=BB14_4 Depth=1
	s_or_b64 exec, exec, s[18:19]
	s_lshl_b64 s[6:7], s[16:17], 12
	v_mov_b32_e32 v1, s7
	v_add_co_u32_e32 v2, vcc, s6, v14
	v_addc_co_u32_e32 v1, vcc, v15, v1, vcc
	v_and_or_b32 v8, v8, s29, 34
	v_mov_b32_e32 v11, v3
	v_readfirstlane_b32 s16, v2
	v_readfirstlane_b32 s17, v1
	s_mov_b32 s6, s4
	s_mov_b32 s7, s4
	;; [unrolled: 1-line block ×3, first 2 shown]
	s_nop 1
	global_store_dwordx4 v37, v[8:11], s[16:17]
	s_nop 0
	v_pk_mov_b32 v[10:11], s[6:7], s[6:7] op_sel:[0,1]
	v_pk_mov_b32 v[8:9], s[4:5], s[4:5] op_sel:[0,1]
	global_store_dwordx4 v37, v[8:11], s[16:17] offset:16
	global_store_dwordx4 v37, v[8:11], s[16:17] offset:32
	;; [unrolled: 1-line block ×3, first 2 shown]
	s_and_saveexec_b64 s[6:7], s[0:1]
	s_cbranch_execz .LBB14_212
; %bb.205:                              ;   in Loop: Header=BB14_4 Depth=1
	global_load_dwordx2 v[20:21], v3, s[12:13] offset:32 glc
	global_load_dwordx2 v[4:5], v3, s[12:13] offset:40
	v_mov_b32_e32 v18, s14
	v_mov_b32_e32 v19, s15
	s_waitcnt vmcnt(0)
	v_readfirstlane_b32 s16, v4
	v_readfirstlane_b32 s17, v5
	s_and_b64 s[16:17], s[16:17], s[14:15]
	s_mul_i32 s5, s17, 24
	s_mul_hi_u32 s17, s16, 24
	s_mul_i32 s16, s16, 24
	s_add_i32 s5, s17, s5
	v_mov_b32_e32 v1, s5
	v_add_co_u32_e32 v4, vcc, s16, v12
	v_addc_co_u32_e32 v5, vcc, v13, v1, vcc
	global_store_dwordx2 v[4:5], v[20:21], off
	buffer_wbl2
	s_waitcnt vmcnt(0)
	global_atomic_cmpswap_x2 v[10:11], v3, v[18:21], s[12:13] offset:32 glc
	s_waitcnt vmcnt(0)
	v_cmp_ne_u64_e32 vcc, v[10:11], v[20:21]
	s_and_saveexec_b64 s[16:17], vcc
	s_cbranch_execz .LBB14_208
; %bb.206:                              ;   in Loop: Header=BB14_4 Depth=1
	s_mov_b64 s[18:19], 0
.LBB14_207:                             ;   Parent Loop BB14_4 Depth=1
                                        ; =>  This Inner Loop Header: Depth=2
	s_sleep 1
	global_store_dwordx2 v[4:5], v[10:11], off
	v_mov_b32_e32 v8, s14
	v_mov_b32_e32 v9, s15
	buffer_wbl2
	s_waitcnt vmcnt(0)
	global_atomic_cmpswap_x2 v[8:9], v3, v[8:11], s[12:13] offset:32 glc
	s_waitcnt vmcnt(0)
	v_cmp_eq_u64_e32 vcc, v[8:9], v[10:11]
	s_or_b64 s[18:19], vcc, s[18:19]
	v_pk_mov_b32 v[10:11], v[8:9], v[8:9] op_sel:[0,1]
	s_andn2_b64 exec, exec, s[18:19]
	s_cbranch_execnz .LBB14_207
.LBB14_208:                             ;   in Loop: Header=BB14_4 Depth=1
	s_or_b64 exec, exec, s[16:17]
	global_load_dwordx2 v[4:5], v3, s[12:13] offset:16
	s_mov_b64 s[18:19], exec
	v_mbcnt_lo_u32_b32 v1, s18, 0
	v_mbcnt_hi_u32_b32 v1, s19, v1
	v_cmp_eq_u32_e32 vcc, 0, v1
	s_and_saveexec_b64 s[16:17], vcc
	s_cbranch_execz .LBB14_210
; %bb.209:                              ;   in Loop: Header=BB14_4 Depth=1
	s_bcnt1_i32_b64 s5, s[18:19]
	v_mov_b32_e32 v2, s5
	buffer_wbl2
	s_waitcnt vmcnt(0)
	global_atomic_add_x2 v[4:5], v[2:3], off offset:8
.LBB14_210:                             ;   in Loop: Header=BB14_4 Depth=1
	s_or_b64 exec, exec, s[16:17]
	s_waitcnt vmcnt(0)
	global_load_dwordx2 v[8:9], v[4:5], off offset:16
	s_waitcnt vmcnt(0)
	v_cmp_eq_u64_e32 vcc, 0, v[8:9]
	s_cbranch_vccnz .LBB14_212
; %bb.211:                              ;   in Loop: Header=BB14_4 Depth=1
	global_load_dword v2, v[4:5], off offset:24
	s_waitcnt vmcnt(0)
	v_and_b32_e32 v1, 0xffffff, v2
	v_readfirstlane_b32 m0, v1
	buffer_wbl2
	global_store_dwordx2 v[8:9], v[2:3], off
	s_sendmsg sendmsg(MSG_INTERRUPT)
.LBB14_212:                             ;   in Loop: Header=BB14_4 Depth=1
	s_or_b64 exec, exec, s[6:7]
	s_branch .LBB14_216
.LBB14_213:                             ;   in Loop: Header=BB14_216 Depth=2
	s_or_b64 exec, exec, s[6:7]
	v_readfirstlane_b32 s5, v1
	s_cmp_eq_u32 s5, 0
	s_cbranch_scc1 .LBB14_215
; %bb.214:                              ;   in Loop: Header=BB14_216 Depth=2
	s_sleep 1
	s_cbranch_execnz .LBB14_216
	s_branch .LBB14_218
.LBB14_215:                             ;   in Loop: Header=BB14_4 Depth=1
	s_branch .LBB14_218
.LBB14_216:                             ;   Parent Loop BB14_4 Depth=1
                                        ; =>  This Inner Loop Header: Depth=2
	v_mov_b32_e32 v1, 1
	s_and_saveexec_b64 s[6:7], s[0:1]
	s_cbranch_execz .LBB14_213
; %bb.217:                              ;   in Loop: Header=BB14_216 Depth=2
	global_load_dword v1, v[16:17], off offset:20 glc
	s_waitcnt vmcnt(0)
	buffer_invl2
	buffer_wbinvl1_vol
	v_and_b32_e32 v1, 1, v1
	s_branch .LBB14_213
.LBB14_218:                             ;   in Loop: Header=BB14_4 Depth=1
	s_and_saveexec_b64 s[6:7], s[0:1]
	s_cbranch_execz .LBB14_2
; %bb.219:                              ;   in Loop: Header=BB14_4 Depth=1
	global_load_dwordx2 v[4:5], v3, s[12:13] offset:40
	global_load_dwordx2 v[12:13], v3, s[12:13] offset:24 glc
	global_load_dwordx2 v[14:15], v3, s[12:13]
	v_mov_b32_e32 v1, s15
	s_waitcnt vmcnt(2)
	v_add_co_u32_e32 v2, vcc, 1, v4
	v_addc_co_u32_e32 v11, vcc, 0, v5, vcc
	v_add_co_u32_e32 v8, vcc, s14, v2
	v_addc_co_u32_e32 v9, vcc, v11, v1, vcc
	v_cmp_eq_u64_e32 vcc, 0, v[8:9]
	v_cndmask_b32_e32 v9, v9, v11, vcc
	v_cndmask_b32_e32 v8, v8, v2, vcc
	v_and_b32_e32 v1, v9, v5
	v_and_b32_e32 v2, v8, v4
	v_mul_lo_u32 v1, v1, 24
	v_mul_hi_u32 v4, v2, 24
	v_mul_lo_u32 v2, v2, 24
	v_add_u32_e32 v1, v4, v1
	s_waitcnt vmcnt(0)
	v_add_co_u32_e32 v4, vcc, v14, v2
	v_addc_co_u32_e32 v5, vcc, v15, v1, vcc
	v_mov_b32_e32 v10, v12
	global_store_dwordx2 v[4:5], v[12:13], off
	v_mov_b32_e32 v11, v13
	buffer_wbl2
	s_waitcnt vmcnt(0)
	global_atomic_cmpswap_x2 v[10:11], v3, v[8:11], s[12:13] offset:24 glc
	s_waitcnt vmcnt(0)
	v_cmp_ne_u64_e32 vcc, v[10:11], v[12:13]
	s_and_b64 exec, exec, vcc
	s_cbranch_execz .LBB14_2
; %bb.220:                              ;   in Loop: Header=BB14_4 Depth=1
	s_mov_b64 s[0:1], 0
.LBB14_221:                             ;   Parent Loop BB14_4 Depth=1
                                        ; =>  This Inner Loop Header: Depth=2
	s_sleep 1
	global_store_dwordx2 v[4:5], v[10:11], off
	buffer_wbl2
	s_waitcnt vmcnt(0)
	global_atomic_cmpswap_x2 v[12:13], v3, v[8:11], s[12:13] offset:24 glc
	s_waitcnt vmcnt(0)
	v_cmp_eq_u64_e32 vcc, v[12:13], v[10:11]
	s_or_b64 s[0:1], vcc, s[0:1]
	v_pk_mov_b32 v[10:11], v[12:13], v[12:13] op_sel:[0,1]
	s_andn2_b64 exec, exec, s[0:1]
	s_cbranch_execnz .LBB14_221
	s_branch .LBB14_2
.LBB14_222:
	s_endpgm
	.section	.rodata,"a",@progbits
	.p2align	6, 0x0
	.amdhsa_kernel _Z5printiPN2rw3CutEPi
		.amdhsa_group_segment_fixed_size 0
		.amdhsa_private_segment_fixed_size 0
		.amdhsa_kernarg_size 280
		.amdhsa_user_sgpr_count 6
		.amdhsa_user_sgpr_private_segment_buffer 1
		.amdhsa_user_sgpr_dispatch_ptr 0
		.amdhsa_user_sgpr_queue_ptr 0
		.amdhsa_user_sgpr_kernarg_segment_ptr 1
		.amdhsa_user_sgpr_dispatch_id 0
		.amdhsa_user_sgpr_flat_scratch_init 0
		.amdhsa_user_sgpr_kernarg_preload_length 0
		.amdhsa_user_sgpr_kernarg_preload_offset 0
		.amdhsa_user_sgpr_private_segment_size 0
		.amdhsa_uses_dynamic_stack 0
		.amdhsa_system_sgpr_private_segment_wavefront_offset 0
		.amdhsa_system_sgpr_workgroup_id_x 1
		.amdhsa_system_sgpr_workgroup_id_y 0
		.amdhsa_system_sgpr_workgroup_id_z 0
		.amdhsa_system_sgpr_workgroup_info 0
		.amdhsa_system_vgpr_workitem_id 0
		.amdhsa_next_free_vgpr 38
		.amdhsa_next_free_sgpr 30
		.amdhsa_accum_offset 40
		.amdhsa_reserve_vcc 1
		.amdhsa_reserve_flat_scratch 0
		.amdhsa_float_round_mode_32 0
		.amdhsa_float_round_mode_16_64 0
		.amdhsa_float_denorm_mode_32 3
		.amdhsa_float_denorm_mode_16_64 3
		.amdhsa_dx10_clamp 1
		.amdhsa_ieee_mode 1
		.amdhsa_fp16_overflow 0
		.amdhsa_tg_split 0
		.amdhsa_exception_fp_ieee_invalid_op 0
		.amdhsa_exception_fp_denorm_src 0
		.amdhsa_exception_fp_ieee_div_zero 0
		.amdhsa_exception_fp_ieee_overflow 0
		.amdhsa_exception_fp_ieee_underflow 0
		.amdhsa_exception_fp_ieee_inexact 0
		.amdhsa_exception_int_div_zero 0
	.end_amdhsa_kernel
	.text
.Lfunc_end14:
	.size	_Z5printiPN2rw3CutEPi, .Lfunc_end14-_Z5printiPN2rw3CutEPi
                                        ; -- End function
	.section	.AMDGPU.csdata,"",@progbits
; Kernel info:
; codeLenInByte = 8536
; NumSgprs: 34
; NumVgprs: 38
; NumAgprs: 0
; TotalNumVgprs: 38
; ScratchSize: 0
; MemoryBound: 0
; FloatMode: 240
; IeeeMode: 1
; LDSByteSize: 0 bytes/workgroup (compile time only)
; SGPRBlocks: 4
; VGPRBlocks: 4
; NumSGPRsForWavesPerEU: 34
; NumVGPRsForWavesPerEU: 38
; AccumOffset: 40
; Occupancy: 8
; WaveLimiterHint : 1
; COMPUTE_PGM_RSRC2:SCRATCH_EN: 0
; COMPUTE_PGM_RSRC2:USER_SGPR: 6
; COMPUTE_PGM_RSRC2:TRAP_HANDLER: 0
; COMPUTE_PGM_RSRC2:TGID_X_EN: 1
; COMPUTE_PGM_RSRC2:TGID_Y_EN: 0
; COMPUTE_PGM_RSRC2:TGID_Z_EN: 0
; COMPUTE_PGM_RSRC2:TIDIG_COMP_CNT: 0
; COMPUTE_PGM_RSRC3_GFX90A:ACCUM_OFFSET: 9
; COMPUTE_PGM_RSRC3_GFX90A:TG_SPLIT: 0
	.text
	.protected	_Z16EvaluateNodeWaveiPiS_S_S_S_S_PN2rw3CutES2_S_PNS0_7LibraryEPNS0_9TableNodeEPKii ; -- Begin function _Z16EvaluateNodeWaveiPiS_S_S_S_S_PN2rw3CutES2_S_PNS0_7LibraryEPNS0_9TableNodeEPKii
	.globl	_Z16EvaluateNodeWaveiPiS_S_S_S_S_PN2rw3CutES2_S_PNS0_7LibraryEPNS0_9TableNodeEPKii
	.p2align	8
	.type	_Z16EvaluateNodeWaveiPiS_S_S_S_S_PN2rw3CutES2_S_PNS0_7LibraryEPNS0_9TableNodeEPKii,@function
_Z16EvaluateNodeWaveiPiS_S_S_S_S_PN2rw3CutES2_S_PNS0_7LibraryEPNS0_9TableNodeEPKii: ; @_Z16EvaluateNodeWaveiPiS_S_S_S_S_PN2rw3CutES2_S_PNS0_7LibraryEPNS0_9TableNodeEPKii
; %bb.0:
	s_add_u32 flat_scratch_lo, s8, s11
	s_addc_u32 flat_scratch_hi, s9, 0
	s_load_dword s8, s[6:7], 0x7c
	s_load_dword s9, s[6:7], 0x0
	s_add_u32 s0, s0, s11
	s_addc_u32 s1, s1, 0
	v_and_b32_e32 v1, 0x3ff, v0
	s_waitcnt lgkmcnt(0)
	s_and_b32 s8, s8, 0xffff
	s_mul_i32 s10, s10, s8
	v_add_u32_e32 v44, s10, v1
	v_cmp_gt_u32_e32 vcc, s9, v44
	s_movk_i32 s32, 0x7800
	s_and_saveexec_b64 s[8:9], vcc
	s_cbranch_execz .LBB15_78
; %bb.1:
	s_load_dwordx8 s[56:63], s[6:7], 0x48
	v_ashrrev_i32_e32 v45, 31, v44
	v_lshlrev_b64 v[46:47], 2, v[44:45]
	s_load_dwordx16 s[40:55], s[6:7], 0x8
	s_mov_b32 s65, 0
	s_waitcnt lgkmcnt(0)
	v_mov_b32_e32 v3, s63
	v_add_co_u32_e32 v2, vcc, s62, v46
	v_addc_co_u32_e32 v3, vcc, v3, v47, vcc
	global_load_dword v2, v[2:3], off offset:4
	s_waitcnt vmcnt(0)
	v_cmp_ne_u32_e32 vcc, 0, v2
	s_and_saveexec_b64 s[10:11], vcc
	s_xor_b64 s[36:37], exec, s[10:11]
	s_cbranch_execz .LBB15_76
; %bb.2:
                                        ; implicit-def: $vgpr94 : SGPR spill to VGPR lane
	s_load_dwordx2 s[4:5], s[4:5], 0x4
	v_writelane_b32 v94, s36, 0
	v_writelane_b32 v94, s37, 1
	v_writelane_b32 v94, s6, 2
	v_writelane_b32 v94, s7, 3
	s_load_dword s6, s[6:7], 0x68
	s_waitcnt lgkmcnt(0)
	s_lshr_b32 s4, s4, 16
	s_mul_i32 s4, s4, s5
	v_bfe_u32 v2, v0, 10, 10
	v_mul_lo_u32 v1, s4, v1
	v_writelane_b32 v94, s6, 4
	s_mov_b64 s[6:7], src_private_base
	s_mov_b32 s4, s7
	v_mad_u32_u24 v1, v2, s5, v1
	v_writelane_b32 v94, s4, 5
	s_mov_b64 s[4:5], src_shared_base
	s_mov_b32 s4, s7
	v_writelane_b32 v94, s4, 6
	s_add_u32 s4, s58, 0x80180
	v_mov_b32_e32 v43, s5
	s_addc_u32 s5, s59, 0
	v_writelane_b32 v94, s4, 7
	v_writelane_b32 v94, s5, 8
	s_add_u32 s4, s58, 0x80000
	v_writelane_b32 v94, s4, 9
	s_addc_u32 s4, s59, 0
	v_writelane_b32 v94, s4, 10
	s_add_u32 s4, s58, 0x40000
	s_addc_u32 s5, s59, 0
	v_writelane_b32 v94, s4, 11
	v_writelane_b32 v94, s5, 12
	s_add_u32 s4, s58, 0xc0180
	v_writelane_b32 v94, s4, 13
	s_addc_u32 s4, s59, 0
	s_add_u32 s66, s58, 0xc4dd0
	s_addc_u32 s67, s59, 0
	v_writelane_b32 v94, s4, 14
	s_add_u32 s4, s58, 0xd1df0
	v_writelane_b32 v94, s4, 15
	s_addc_u32 s4, s59, 0
	v_writelane_b32 v94, s4, 16
	s_add_u32 s4, s58, 0xdee10
	v_writelane_b32 v94, s4, 17
	;; [unrolled: 4-line block ×4, first 2 shown]
	s_addc_u32 s4, s59, 0
	v_writelane_b32 v94, s4, 22
	s_add_u32 s4, s58, 0xc0870
	v_add_u32_e32 v40, 1, v44
	v_bfe_u32 v0, v0, 20, 10
	v_mov_b32_e32 v56, 0
	v_mov_b32_e32 v59, 0x100
	s_addc_u32 s5, s59, 0
	v_add_lshl_u32 v72, v1, v0, 5
	v_lshlrev_b32_e32 v45, 3, v40
	v_add_u32_e32 v60, 16, v59
	v_add_u32_e32 v73, 16, v56
	v_writelane_b32 v94, s4, 23
	s_mov_b64 s[74:75], 0
	v_mov_b32_e32 v88, -1
	v_mov_b32_e32 v90, 0x5f5e0ff
	v_mov_b32_e32 v74, 0
	v_mov_b32_e32 v89, -1
	s_movk_i32 s88, 0xf0
	v_mov_b32_e32 v91, 0xe0
	v_mov_b32_e32 v92, 2
	v_mov_b32_e32 v58, -1
	s_mov_b32 s89, 0
	v_writelane_b32 v94, s5, 24
                                        ; implicit-def: $sgpr76_sgpr77
                                        ; implicit-def: $sgpr78_sgpr79
                                        ; implicit-def: $sgpr80_sgpr81
                                        ; implicit-def: $sgpr82_sgpr83
                                        ; implicit-def: $vgpr57
	s_branch .LBB15_4
.LBB15_3:                               ;   in Loop: Header=BB15_4 Depth=1
	s_or_b64 exec, exec, s[8:9]
	s_and_b64 s[4:5], exec, s[6:7]
	s_or_b64 s[74:75], s[4:5], s[74:75]
	s_andn2_b64 s[4:5], s[78:79], exec
	s_and_b64 s[6:7], s[82:83], exec
	s_or_b64 s[78:79], s[4:5], s[6:7]
	s_andn2_b64 s[4:5], s[76:77], exec
	s_and_b64 s[6:7], s[80:81], exec
	s_or_b64 s[76:77], s[4:5], s[6:7]
	s_andn2_b64 exec, exec, s[74:75]
	s_cbranch_execz .LBB15_71
.LBB15_4:                               ; =>This Loop Header: Depth=1
                                        ;     Child Loop BB15_13 Depth 2
                                        ;       Child Loop BB15_26 Depth 3
                                        ;       Child Loop BB15_41 Depth 3
                                        ;     Child Loop BB15_53 Depth 2
	v_or_b32_e32 v0, s89, v45
	v_mad_i64_i32 v[76:77], s[4:5], v0, 28, s[52:53]
	global_load_ubyte v0, v[76:77], off offset:24
	s_mov_b64 s[4:5], -1
                                        ; implicit-def: $sgpr8_sgpr9
                                        ; implicit-def: $sgpr10_sgpr11
	s_waitcnt vmcnt(0)
	v_cmp_ne_u16_e32 vcc, 0, v0
	s_and_saveexec_b64 s[84:85], vcc
	s_cbranch_execz .LBB15_69
; %bb.5:                                ;   in Loop: Header=BB15_4 Depth=1
	global_load_dword v75, v[76:77], off offset:20
                                        ; implicit-def: $sgpr6_sgpr7
                                        ; implicit-def: $sgpr8_sgpr9
	s_waitcnt vmcnt(0)
	v_bfe_u32 v93, v75, 27, 4
	v_cmp_gt_u32_e64 s[94:95], 3, v93
	v_cmp_lt_u32_e32 vcc, 2, v93
	s_mov_b64 s[4:5], exec
	v_writelane_b32 v94, s4, 25
	v_writelane_b32 v94, s5, 26
	s_and_b64 s[4:5], s[4:5], vcc
	s_mov_b64 exec, s[4:5]
	s_cbranch_execz .LBB15_68
; %bb.6:                                ;   in Loop: Header=BB15_4 Depth=1
	v_cmp_eq_u32_e32 vcc, 3, v93
	s_and_saveexec_b64 s[4:5], vcc
	s_cbranch_execz .LBB15_8
; %bb.7:                                ;   in Loop: Header=BB15_4 Depth=1
	v_and_b32_e32 v0, 0x87ffffff, v75
	v_or_b32_e32 v75, 0x20000000, v0
	global_store_dwordx2 v[76:77], v[74:75], off offset:16
.LBB15_8:                               ;   in Loop: Header=BB15_4 Depth=1
	s_or_b64 exec, exec, s[4:5]
	s_movk_i32 s6, 0xd8
	v_mov_b32_e32 v7, s6
	v_readlane_b32 s6, v94, 5
	v_mov_b32_e32 v8, s6
	s_movk_i32 s6, 0xe0
	v_mov_b32_e32 v11, s6
	v_readlane_b32 s6, v94, 6
	v_mov_b32_e32 v0, v40
	v_mov_b32_e32 v1, v76
	;; [unrolled: 1-line block ×12, first 2 shown]
	buffer_store_dword v74, off, s[0:3], 0 offset:216
	s_getpc_b64 s[4:5]
	s_add_u32 s4, s4, _Z8CalcMFFCiPN2rw3CutEPiS2_S2_S2_S2_S2_i@rel32@lo+4
	s_addc_u32 s5, s5, _Z8CalcMFFCiPN2rw3CutEPiS2_S2_S2_S2_S2_i@rel32@hi+12
	s_swappc_b64 s[30:31], s[4:5]
	v_readlane_b32 s4, v94, 11
	v_lshlrev_b32_sdwa v10, v92, v75 dst_sel:DWORD dst_unused:UNUSED_PAD src0_sel:DWORD src1_sel:WORD_0
	v_readlane_b32 s5, v94, 12
	v_mov_b32_e32 v41, v0
	v_mov_b32_e32 v11, s51
	s_mov_b64 s[6:7], -1
                                        ; implicit-def: $sgpr90_sgpr91
                                        ; implicit-def: $sgpr92_sgpr93
	s_nop 1
	global_load_dword v0, v10, s[4:5]
	v_readlane_b32 s4, v94, 7
	v_readlane_b32 s5, v94, 8
	s_waitcnt vmcnt(0)
	v_ashrrev_i32_e32 v1, 31, v0
	s_nop 2
	global_load_dword v62, v10, s[4:5]
	v_readlane_b32 s4, v94, 10
	v_mov_b32_e32 v2, s4
	v_lshlrev_b64 v[0:1], 4, v[0:1]
	v_readlane_b32 s4, v94, 9
	v_add_co_u32_e32 v0, vcc, s4, v0
	v_addc_co_u32_e32 v1, vcc, v2, v1, vcc
	global_load_dwordx4 v[2:5], v[0:1], off
	v_readlane_b32 s4, v94, 14
	v_mov_b32_e32 v7, s4
	v_readlane_b32 s4, v94, 13
	s_waitcnt vmcnt(1)
	v_ashrrev_i32_e32 v63, 31, v62
	v_lshlrev_b64 v[0:1], 2, v[62:63]
	v_add_co_u32_e32 v6, vcc, s4, v0
	v_addc_co_u32_e32 v7, vcc, v7, v1, vcc
	global_load_dword v14, v[6:7], off
	s_waitcnt vmcnt(1)
	v_ashrrev_i32_e32 v7, 31, v2
	v_mov_b32_e32 v6, v2
	v_ashrrev_i32_e32 v9, 31, v3
	v_mov_b32_e32 v8, v3
	v_ashrrev_i32_e32 v3, 31, v4
	v_mov_b32_e32 v2, v4
	v_ashrrev_i32_e32 v13, 31, v5
	v_mov_b32_e32 v12, v5
	v_lshlrev_b64 v[4:5], 2, v[6:7]
	v_add_co_u32_e32 v4, vcc, v76, v4
	v_lshlrev_b64 v[6:7], 2, v[8:9]
	v_addc_co_u32_e32 v5, vcc, v77, v5, vcc
	v_add_co_u32_e32 v6, vcc, v76, v6
	v_lshlrev_b64 v[2:3], 2, v[2:3]
	v_addc_co_u32_e32 v7, vcc, v77, v7, vcc
	;; [unrolled: 3-line block ×3, first 2 shown]
	v_add_co_u32_e32 v8, vcc, v76, v8
	v_addc_co_u32_e32 v9, vcc, v77, v9, vcc
	global_load_dword v4, v[4:5], off offset:4
	s_nop 0
	global_load_dword v6, v[6:7], off offset:4
	s_nop 0
	global_load_dword v2, v[2:3], off offset:4
	s_nop 0
	global_load_dword v8, v[8:9], off offset:4
	s_nop 0
	buffer_store_dword v89, off, s[0:3], 0 offset:260
	buffer_store_dword v89, off, s[0:3], 0 offset:256
	;; [unrolled: 1-line block ×3, first 2 shown]
	buffer_store_dword v89, off, s[0:3], 0
	buffer_store_dword v89, off, s[0:3], 0 offset:268
	buffer_store_dword v89, off, s[0:3], 0 offset:264
	;; [unrolled: 1-line block ×32, first 2 shown]
	s_waitcnt vmcnt(39)
	v_ashrrev_i32_e32 v5, 31, v4
	v_lshlrev_b64 v[12:13], 2, v[4:5]
	s_waitcnt vmcnt(38)
	v_ashrrev_i32_e32 v7, 31, v6
	v_add_co_u32_e32 v12, vcc, s50, v12
	v_lshlrev_b64 v[16:17], 2, v[6:7]
	v_addc_co_u32_e32 v13, vcc, v11, v13, vcc
	s_waitcnt vmcnt(37)
	v_ashrrev_i32_e32 v3, 31, v2
	v_add_co_u32_e32 v16, vcc, s50, v16
	v_lshlrev_b64 v[18:19], 2, v[2:3]
	v_addc_co_u32_e32 v17, vcc, v11, v17, vcc
	;; [unrolled: 5-line block ×3, first 2 shown]
	v_add_co_u32_e32 v20, vcc, s50, v20
	v_addc_co_u32_e32 v21, vcc, v11, v21, vcc
	global_load_dword v3, v[12:13], off
	global_load_dword v5, v[16:17], off
	;; [unrolled: 1-line block ×4, first 2 shown]
	v_cmp_lt_i32_e32 vcc, 0, v14
	buffer_store_dword v89, off, s[0:3], 0 offset:328
	buffer_store_dword v89, off, s[0:3], 0 offset:332
	buffer_store_dword v89, off, s[0:3], 0 offset:72
	buffer_store_dword v89, off, s[0:3], 0 offset:76
	buffer_store_dword v89, off, s[0:3], 0 offset:336
	buffer_store_dword v89, off, s[0:3], 0 offset:340
	buffer_store_dword v89, off, s[0:3], 0 offset:80
	buffer_store_dword v89, off, s[0:3], 0 offset:84
	buffer_store_dword v89, off, s[0:3], 0 offset:344
	buffer_store_dword v89, off, s[0:3], 0 offset:348
	buffer_store_dword v89, off, s[0:3], 0 offset:92
	buffer_store_dword v89, off, s[0:3], 0 offset:88
	buffer_store_dword v89, off, s[0:3], 0 offset:352
	buffer_store_dword v89, off, s[0:3], 0 offset:356
	buffer_store_dword v89, off, s[0:3], 0 offset:96
	buffer_store_dword v89, off, s[0:3], 0 offset:100
	buffer_store_dword v89, off, s[0:3], 0 offset:360
	buffer_store_dword v89, off, s[0:3], 0 offset:364
	buffer_store_dword v89, off, s[0:3], 0 offset:104
	buffer_store_dword v89, off, s[0:3], 0 offset:108
	buffer_store_dword v89, off, s[0:3], 0 offset:368
	buffer_store_dword v89, off, s[0:3], 0 offset:372
	buffer_store_dword v89, off, s[0:3], 0 offset:112
	buffer_store_dword v89, off, s[0:3], 0 offset:116
	buffer_store_dword v89, off, s[0:3], 0 offset:376
	buffer_store_dword v89, off, s[0:3], 0 offset:380
	buffer_store_dword v89, off, s[0:3], 0 offset:120
	buffer_store_dword v89, off, s[0:3], 0 offset:124
	buffer_store_dword v89, off, s[0:3], 0 offset:388
	buffer_store_dword v89, off, s[0:3], 0 offset:384
	buffer_store_dword v89, off, s[0:3], 0 offset:128
	buffer_store_dword v89, off, s[0:3], 0 offset:132
	buffer_store_dword v89, off, s[0:3], 0 offset:392
	buffer_store_dword v89, off, s[0:3], 0 offset:396
	buffer_store_dword v89, off, s[0:3], 0 offset:136
	buffer_store_dword v89, off, s[0:3], 0 offset:140
	buffer_store_dword v89, off, s[0:3], 0 offset:400
	buffer_store_dword v89, off, s[0:3], 0 offset:404
	buffer_store_dword v89, off, s[0:3], 0 offset:144
	buffer_store_dword v89, off, s[0:3], 0 offset:148
	buffer_store_dword v89, off, s[0:3], 0 offset:408
	buffer_store_dword v89, off, s[0:3], 0 offset:412
	buffer_store_dword v89, off, s[0:3], 0 offset:152
	buffer_store_dword v89, off, s[0:3], 0 offset:156
	buffer_store_dword v89, off, s[0:3], 0 offset:416
	buffer_store_dword v89, off, s[0:3], 0 offset:420
	buffer_store_dword v89, off, s[0:3], 0 offset:164
	buffer_store_dword v89, off, s[0:3], 0 offset:160
	buffer_store_dword v89, off, s[0:3], 0 offset:424
	buffer_store_dword v89, off, s[0:3], 0 offset:428
	buffer_store_dword v89, off, s[0:3], 0 offset:168
	buffer_store_dword v89, off, s[0:3], 0 offset:172
	buffer_store_dword v89, off, s[0:3], 0 offset:432
	buffer_store_dword v89, off, s[0:3], 0 offset:436
	buffer_store_dword v89, off, s[0:3], 0 offset:176
	buffer_store_dword v89, off, s[0:3], 0 offset:180
	buffer_store_dword v89, off, s[0:3], 0 offset:440
	buffer_store_dword v89, off, s[0:3], 0 offset:444
	buffer_store_dword v89, off, s[0:3], 0 offset:184
	buffer_store_dword v89, off, s[0:3], 0 offset:188
	buffer_store_dword v89, off, s[0:3], 0 offset:448
	buffer_store_dword v89, off, s[0:3], 0 offset:452
	buffer_store_dword v89, off, s[0:3], 0 offset:192
	buffer_store_dword v89, off, s[0:3], 0 offset:196
	buffer_store_dword v89, off, s[0:3], 0 offset:460
	buffer_store_dword v89, off, s[0:3], 0 offset:456
	buffer_store_dword v89, off, s[0:3], 0 offset:200
	buffer_store_dword v89, off, s[0:3], 0 offset:204
	buffer_store_dword v89, off, s[0:3], 0 offset:464
	buffer_store_dword v89, off, s[0:3], 0 offset:468
	buffer_store_dword v89, off, s[0:3], 0 offset:208
	buffer_store_dword v89, off, s[0:3], 0 offset:212
	buffer_store_dword v4, off, s[0:3], 0
	buffer_store_dword v6, off, s[0:3], 0 offset:4
	buffer_store_dword v8, off, s[0:3], 0 offset:12
	;; [unrolled: 1-line block ×3, first 2 shown]
	s_waitcnt vmcnt(62)
	buffer_store_dword v3, off, s[0:3], 0 offset:256
	buffer_store_dword v5, off, s[0:3], 0 offset:260
	;; [unrolled: 1-line block ×4, first 2 shown]
	s_and_saveexec_b64 s[10:11], vcc
	s_cbranch_execz .LBB15_49
; %bb.9:                                ;   in Loop: Header=BB15_4 Depth=1
	global_load_dword v4, v10, s[58:59]
	buffer_load_dword v15, off, s[0:3], 0 offset:216
	s_getpc_b64 s[4:5]
	s_add_u32 s4, s4, P@rel32@lo+4
	s_addc_u32 s5, s5, P@rel32@hi+12
	global_load_dwordx2 v[2:3], v74, s[4:5]
	v_mov_b32_e32 v5, v74
	s_mov_b32 s64, 0
	s_mov_b64 s[14:15], 0
	s_mov_b64 s[22:23], 0
                                        ; implicit-def: $sgpr12_sgpr13
                                        ; implicit-def: $sgpr18_sgpr19
                                        ; implicit-def: $sgpr16_sgpr17
                                        ; implicit-def: $sgpr20_sgpr21
                                        ; implicit-def: $sgpr24_sgpr25
	s_waitcnt vmcnt(2)
	v_and_b32_e32 v4, 15, v4
	s_waitcnt vmcnt(1)
	v_cmp_lt_i32_e64 s[4:5], 0, v15
	s_branch .LBB15_13
.LBB15_10:                              ;   in Loop: Header=BB15_13 Depth=2
	s_or_b64 exec, exec, s[34:35]
	s_add_i32 s64, s64, 1
	v_cmp_eq_u32_e32 vcc, s64, v14
	s_xor_b64 s[34:35], exec, -1
	s_orn2_b64 s[6:7], vcc, exec
.LBB15_11:                              ;   in Loop: Header=BB15_13 Depth=2
	s_or_b64 exec, exec, s[30:31]
	s_andn2_b64 s[8:9], s[24:25], exec
	s_and_b64 s[24:25], s[34:35], exec
	s_or_b64 s[24:25], s[8:9], s[24:25]
	s_andn2_b64 s[8:9], s[20:21], exec
	s_and_b64 s[6:7], s[6:7], exec
	s_or_b64 s[20:21], s[8:9], s[6:7]
.LBB15_12:                              ;   in Loop: Header=BB15_13 Depth=2
	s_or_b64 exec, exec, s[28:29]
	s_xor_b64 s[6:7], s[24:25], -1
	s_and_b64 s[8:9], exec, s[20:21]
	s_or_b64 s[22:23], s[8:9], s[22:23]
	s_andn2_b64 s[8:9], s[16:17], exec
	s_and_b64 s[16:17], s[26:27], exec
	s_or_b64 s[16:17], s[8:9], s[16:17]
	s_andn2_b64 s[8:9], s[18:19], exec
	s_and_b64 s[18:19], s[14:15], exec
	;; [unrolled: 3-line block ×3, first 2 shown]
	s_or_b64 s[12:13], s[8:9], s[6:7]
	s_andn2_b64 exec, exec, s[22:23]
	s_cbranch_execz .LBB15_48
.LBB15_13:                              ;   Parent Loop BB15_4 Depth=1
                                        ; =>  This Loop Header: Depth=2
                                        ;       Child Loop BB15_26 Depth 3
                                        ;       Child Loop BB15_41 Depth 3
	s_lshl_b64 s[8:9], s[64:65], 2
	s_add_u32 s6, s8, s66
	s_addc_u32 s7, s9, s67
	v_pk_mov_b32 v[6:7], s[6:7], s[6:7] op_sel:[0,1]
	v_mad_i64_i32 v[6:7], s[6:7], v62, s88, v[6:7]
	global_load_dword v6, v[6:7], off
	s_mov_b64 s[26:27], -1
	s_or_b64 s[24:25], s[24:25], exec
	s_or_b64 s[20:21], s[20:21], exec
	s_waitcnt vmcnt(0)
	v_lshl_add_u32 v7, v6, 2, v59
	buffer_load_dword v8, v7, s[0:3], 0 offen
	s_waitcnt vmcnt(0)
	v_cmp_ne_u32_e32 vcc, -1, v8
	s_and_saveexec_b64 s[28:29], vcc
	s_cbranch_execz .LBB15_12
; %bb.14:                               ;   in Loop: Header=BB15_13 Depth=2
	v_readlane_b32 s6, v94, 15
	s_add_u32 s6, s8, s6
	v_readlane_b32 s7, v94, 16
	s_addc_u32 s7, s9, s7
	v_pk_mov_b32 v[10:11], s[6:7], s[6:7] op_sel:[0,1]
	v_mad_i64_i32 v[10:11], s[6:7], v62, s88, v[10:11]
	global_load_dword v7, v[10:11], off
	s_mov_b64 s[6:7], -1
	s_mov_b64 s[34:35], -1
	s_waitcnt vmcnt(0)
	v_lshl_add_u32 v9, v7, 2, v59
	buffer_load_dword v9, v9, s[0:3], 0 offen
	s_waitcnt vmcnt(0)
	v_cmp_ne_u32_e32 vcc, -1, v9
	s_and_saveexec_b64 s[30:31], vcc
	s_cbranch_execz .LBB15_11
; %bb.15:                               ;   in Loop: Header=BB15_13 Depth=2
	v_lshl_add_u32 v10, v6, 2, v56
	buffer_load_dword v17, v10, s[0:3], 0 offen
	v_max_i32_e32 v8, v8, v9
	s_lshl_b32 s33, s64, 2
	v_add_u32_e32 v8, 1, v8
	v_add_u32_e32 v16, s33, v60
	buffer_store_dword v8, v16, s[0:3], 0 offen
	s_waitcnt vmcnt(1)
	v_cmp_ne_u32_e32 vcc, -1, v17
	s_and_saveexec_b64 s[34:35], vcc
	s_cbranch_execz .LBB15_10
; %bb.16:                               ;   in Loop: Header=BB15_13 Depth=2
	v_lshl_add_u32 v8, v7, 2, v56
	buffer_load_dword v8, v8, s[0:3], 0 offen
	v_cmp_ne_u32_e32 vcc, v17, v40
	s_waitcnt vmcnt(0)
	v_cmp_ne_u32_e64 s[6:7], -1, v8
	s_and_b64 s[6:7], vcc, s[6:7]
	v_cmp_ne_u32_e32 vcc, v8, v40
	s_and_b64 s[6:7], vcc, s[6:7]
	s_and_b64 exec, exec, s[6:7]
	s_cbranch_execz .LBB15_10
; %bb.17:                               ;   in Loop: Header=BB15_13 Depth=2
	v_readlane_b32 s6, v94, 17
	s_add_u32 s6, s8, s6
	v_readlane_b32 s7, v94, 18
	s_addc_u32 s7, s9, s7
	v_pk_mov_b32 v[10:11], s[6:7], s[6:7] op_sel:[0,1]
	v_mad_i64_i32 v[10:11], s[6:7], v62, s88, v[10:11]
	v_readlane_b32 s6, v94, 19
	s_add_u32 s6, s8, s6
	v_readlane_b32 s7, v94, 20
	s_addc_u32 s7, s9, s7
	v_pk_mov_b32 v[12:13], s[6:7], s[6:7] op_sel:[0,1]
	v_mad_i64_i32 v[12:13], s[6:7], v62, s88, v[12:13]
	global_load_dword v9, v[10:11], off
	s_nop 0
	global_load_dword v12, v[12:13], off
	v_lshrrev_b64 v[10:11], v6, v[4:5]
	v_lshrrev_b64 v[6:7], v7, v[4:5]
	v_and_b32_e32 v6, 1, v6
	v_and_b32_e32 v7, 1, v10
	v_cmp_gt_i32_e32 vcc, v17, v8
	v_mov_b32_e32 v20, v8
	s_waitcnt vmcnt(1)
	v_xor_b32_e32 v18, v9, v7
	s_waitcnt vmcnt(0)
	v_xor_b32_e32 v6, v12, v6
	v_mov_b32_e32 v19, v6
	s_and_saveexec_b64 s[6:7], vcc
; %bb.18:                               ;   in Loop: Header=BB15_13 Depth=2
	v_mov_b32_e32 v19, v18
	v_mov_b32_e32 v18, v6
	;; [unrolled: 1-line block ×4, first 2 shown]
; %bb.19:                               ;   in Loop: Header=BB15_13 Depth=2
	s_or_b64 exec, exec, s[6:7]
	global_load_dword v10, v[2:3], off
	s_movk_i32 s6, 0x1f01
	v_mul_lo_u32 v6, v17, s6
	s_movk_i32 s6, 0xb9b
	v_mul_lo_u32 v7, v20, s6
	;; [unrolled: 2-line block ×4, first 2 shown]
	v_xor_b32_e32 v8, v8, v9
	v_xor_b32_e32 v7, v8, v7
	;; [unrolled: 1-line block ×3, first 2 shown]
	v_ashrrev_i32_e32 v7, 31, v6
                                        ; implicit-def: $vgpr8_vgpr9
	s_waitcnt vmcnt(0)
	v_ashrrev_i32_e32 v11, 31, v10
	v_or_b32_e32 v75, v7, v11
	v_cmp_ne_u64_e32 vcc, 0, v[74:75]
	s_and_saveexec_b64 s[6:7], vcc
	s_xor_b64 s[36:37], exec, s[6:7]
	s_cbranch_execz .LBB15_21
; %bb.20:                               ;   in Loop: Header=BB15_13 Depth=2
	v_cvt_f32_u32_e32 v8, v10
	v_cvt_f32_u32_e32 v9, v11
	v_sub_co_u32_e32 v12, vcc, 0, v10
	v_subb_co_u32_e32 v13, vcc, 0, v11, vcc
	v_mac_f32_e32 v8, 0x4f800000, v9
	v_rcp_f32_e32 v8, v8
	v_mul_f32_e32 v8, 0x5f7ffffc, v8
	v_mul_f32_e32 v9, 0x2f800000, v8
	v_trunc_f32_e32 v9, v9
	v_mac_f32_e32 v8, 0xcf800000, v9
	v_cvt_u32_f32_e32 v9, v9
	v_cvt_u32_f32_e32 v8, v8
	v_mul_lo_u32 v21, v12, v9
	v_mul_hi_u32 v23, v12, v8
	v_mul_lo_u32 v22, v13, v8
	v_add_u32_e32 v21, v23, v21
	v_add_u32_e32 v21, v21, v22
	v_mul_lo_u32 v24, v12, v8
	v_mul_lo_u32 v23, v8, v21
	v_mul_hi_u32 v25, v8, v24
	v_mul_hi_u32 v22, v8, v21
	v_add_co_u32_e32 v23, vcc, v25, v23
	v_addc_co_u32_e32 v22, vcc, 0, v22, vcc
	v_mul_hi_u32 v26, v9, v24
	v_mul_lo_u32 v24, v9, v24
	v_add_co_u32_e32 v23, vcc, v23, v24
	v_mul_hi_u32 v25, v9, v21
	v_addc_co_u32_e32 v22, vcc, v22, v26, vcc
	v_addc_co_u32_e32 v23, vcc, 0, v25, vcc
	v_mul_lo_u32 v21, v9, v21
	v_add_co_u32_e32 v21, vcc, v22, v21
	v_addc_co_u32_e32 v22, vcc, 0, v23, vcc
	v_add_co_u32_e32 v8, vcc, v8, v21
	v_addc_co_u32_e32 v9, vcc, v9, v22, vcc
	v_mul_lo_u32 v21, v12, v9
	v_mul_hi_u32 v22, v12, v8
	v_add_u32_e32 v21, v22, v21
	v_mul_lo_u32 v13, v13, v8
	v_add_u32_e32 v13, v21, v13
	v_mul_lo_u32 v12, v12, v8
	v_mul_hi_u32 v22, v9, v12
	v_mul_lo_u32 v23, v9, v12
	v_mul_lo_u32 v25, v8, v13
	v_mul_hi_u32 v12, v8, v12
	v_mul_hi_u32 v24, v8, v13
	v_add_co_u32_e32 v12, vcc, v12, v25
	v_addc_co_u32_e32 v24, vcc, 0, v24, vcc
	v_add_co_u32_e32 v12, vcc, v12, v23
	v_mul_hi_u32 v21, v9, v13
	v_addc_co_u32_e32 v12, vcc, v24, v22, vcc
	v_addc_co_u32_e32 v21, vcc, 0, v21, vcc
	v_mul_lo_u32 v13, v9, v13
	v_add_co_u32_e32 v12, vcc, v12, v13
	v_addc_co_u32_e32 v13, vcc, 0, v21, vcc
	v_add_co_u32_e32 v12, vcc, v8, v12
	v_addc_co_u32_e32 v13, vcc, v9, v13, vcc
	v_mad_u64_u32 v[8:9], s[6:7], v6, v13, 0
	v_mul_hi_u32 v21, v6, v12
	v_add_co_u32_e32 v21, vcc, v21, v8
	v_addc_co_u32_e32 v22, vcc, 0, v9, vcc
	v_mad_u64_u32 v[8:9], s[6:7], v7, v13, 0
	v_mad_u64_u32 v[12:13], s[6:7], v7, v12, 0
	v_add_co_u32_e32 v12, vcc, v21, v12
	v_addc_co_u32_e32 v12, vcc, v22, v13, vcc
	v_addc_co_u32_e32 v9, vcc, 0, v9, vcc
	v_add_co_u32_e32 v8, vcc, v12, v8
	v_addc_co_u32_e32 v9, vcc, 0, v9, vcc
	v_mul_lo_u32 v12, v11, v8
	v_mul_lo_u32 v13, v10, v9
	v_mad_u64_u32 v[8:9], s[6:7], v10, v8, 0
	v_add3_u32 v9, v9, v13, v12
	v_sub_u32_e32 v12, v7, v9
	v_sub_co_u32_e32 v6, vcc, v6, v8
	v_subb_co_u32_e64 v8, s[6:7], v12, v11, vcc
	v_sub_co_u32_e64 v12, s[6:7], v6, v10
	v_subbrev_co_u32_e64 v13, s[8:9], 0, v8, s[6:7]
	v_cmp_ge_u32_e64 s[8:9], v13, v11
	v_cndmask_b32_e64 v21, 0, -1, s[8:9]
	v_cmp_ge_u32_e64 s[8:9], v12, v10
	v_subb_co_u32_e32 v7, vcc, v7, v9, vcc
	v_cndmask_b32_e64 v22, 0, -1, s[8:9]
	v_cmp_eq_u32_e64 s[8:9], v13, v11
	v_subb_co_u32_e64 v8, s[6:7], v8, v11, s[6:7]
	v_cmp_ge_u32_e32 vcc, v7, v11
	v_cndmask_b32_e64 v21, v21, v22, s[8:9]
	v_sub_co_u32_e64 v22, s[6:7], v12, v10
	v_cndmask_b32_e64 v9, 0, -1, vcc
	v_cmp_ge_u32_e32 vcc, v6, v10
	v_subbrev_co_u32_e64 v8, s[6:7], 0, v8, s[6:7]
	v_cndmask_b32_e64 v10, 0, -1, vcc
	v_cmp_eq_u32_e32 vcc, v7, v11
	v_cmp_ne_u32_e64 s[6:7], 0, v21
	v_cndmask_b32_e32 v9, v9, v10, vcc
	v_cndmask_b32_e64 v8, v13, v8, s[6:7]
	v_cmp_ne_u32_e32 vcc, 0, v9
	v_cndmask_b32_e32 v9, v7, v8, vcc
	v_cndmask_b32_e64 v7, v12, v22, s[6:7]
	v_cndmask_b32_e32 v8, v6, v7, vcc
                                        ; implicit-def: $vgpr10
                                        ; implicit-def: $vgpr6_vgpr7
.LBB15_21:                              ;   in Loop: Header=BB15_13 Depth=2
	s_andn2_saveexec_b64 s[6:7], s[36:37]
	s_cbranch_execz .LBB15_23
; %bb.22:                               ;   in Loop: Header=BB15_13 Depth=2
	v_cvt_f32_u32_e32 v7, v10
	v_sub_u32_e32 v8, 0, v10
	v_mov_b32_e32 v9, v74
	v_rcp_iflag_f32_e32 v7, v7
	v_mul_f32_e32 v7, 0x4f7ffffe, v7
	v_cvt_u32_f32_e32 v7, v7
	v_mul_lo_u32 v8, v8, v7
	v_mul_hi_u32 v8, v7, v8
	v_add_u32_e32 v7, v7, v8
	v_mul_hi_u32 v7, v6, v7
	v_mul_lo_u32 v7, v7, v10
	v_sub_u32_e32 v6, v6, v7
	v_sub_u32_e32 v7, v6, v10
	v_cmp_ge_u32_e32 vcc, v6, v10
	v_cndmask_b32_e32 v6, v6, v7, vcc
	v_sub_u32_e32 v7, v6, v10
	v_cmp_ge_u32_e32 vcc, v6, v10
	v_cndmask_b32_e32 v8, v6, v7, vcc
.LBB15_23:                              ;   in Loop: Header=BB15_13 Depth=2
	s_or_b64 exec, exec, s[6:7]
	v_lshlrev_b64 v[6:7], 3, v[8:9]
	v_mov_b32_e32 v8, s61
	v_add_co_u32_e32 v6, vcc, s60, v6
	v_addc_co_u32_e32 v7, vcc, v8, v7, vcc
	global_load_dword v12, v[6:7], off offset:4
	v_mov_b32_e32 v6, -1
	s_waitcnt vmcnt(0)
	v_cmp_ne_u32_e32 vcc, -1, v12
	s_and_saveexec_b64 s[6:7], vcc
	s_cbranch_execz .LBB15_37
; %bb.24:                               ;   in Loop: Header=BB15_13 Depth=2
	s_mov_b64 s[8:9], 0
                                        ; implicit-def: $vgpr21
	s_branch .LBB15_26
.LBB15_25:                              ;   in Loop: Header=BB15_26 Depth=3
	s_or_b64 exec, exec, s[38:39]
	s_and_b64 s[36:37], exec, s[36:37]
	s_or_b64 s[8:9], s[36:37], s[8:9]
	v_mov_b32_e32 v21, v8
	s_andn2_b64 exec, exec, s[8:9]
	s_cbranch_execz .LBB15_36
.LBB15_26:                              ;   Parent Loop BB15_4 Depth=1
                                        ;     Parent Loop BB15_13 Depth=2
                                        ; =>    This Inner Loop Header: Depth=3
	v_ashrrev_i32_e32 v13, 31, v12
	v_lshlrev_b64 v[6:7], 3, v[12:13]
	v_mov_b32_e32 v8, s61
	v_add_co_u32_e32 v10, vcc, s60, v6
	v_addc_co_u32_e32 v11, vcc, v8, v7, vcc
	global_load_dword v8, v[10:11], off
	v_mov_b32_e32 v13, s43
                                        ; implicit-def: $sgpr62_sgpr63
	s_waitcnt vmcnt(0)
	v_ashrrev_i32_e32 v9, 31, v8
	v_lshlrev_b64 v[6:7], 2, v[8:9]
	v_add_co_u32_e32 v12, vcc, s42, v6
	v_addc_co_u32_e32 v13, vcc, v13, v7, vcc
	global_load_dword v9, v[12:13], off
	s_waitcnt vmcnt(0)
	v_cmp_ne_u32_e64 s[36:37], v9, v17
	v_cmp_eq_u32_e32 vcc, v9, v17
	s_and_saveexec_b64 s[38:39], vcc
	s_cbranch_execz .LBB15_32
; %bb.27:                               ;   in Loop: Header=BB15_26 Depth=3
	v_mov_b32_e32 v9, s45
	v_add_co_u32_e32 v12, vcc, s44, v6
	v_addc_co_u32_e32 v13, vcc, v9, v7, vcc
	global_load_dword v9, v[12:13], off
                                        ; implicit-def: $sgpr62_sgpr63
	s_waitcnt vmcnt(0)
	v_cmp_ne_u32_e64 s[68:69], v9, v20
	v_cmp_eq_u32_e32 vcc, v9, v20
	s_and_saveexec_b64 s[70:71], vcc
	s_cbranch_execz .LBB15_31
; %bb.28:                               ;   in Loop: Header=BB15_26 Depth=3
	v_mov_b32_e32 v9, s47
	v_add_co_u32_e32 v12, vcc, s46, v6
	v_addc_co_u32_e32 v13, vcc, v9, v7, vcc
	global_load_dword v9, v[12:13], off
                                        ; implicit-def: $sgpr62_sgpr63
	s_waitcnt vmcnt(0)
	v_cmp_ne_u32_e64 s[72:73], v9, v18
	v_cmp_eq_u32_e32 vcc, v9, v18
	s_and_saveexec_b64 s[90:91], vcc
	s_cbranch_execz .LBB15_30
; %bb.29:                               ;   in Loop: Header=BB15_26 Depth=3
	v_mov_b32_e32 v9, s49
	v_add_co_u32_e32 v6, vcc, s48, v6
	v_addc_co_u32_e32 v7, vcc, v9, v7, vcc
	global_load_dword v6, v[6:7], off
	s_andn2_b64 s[72:73], s[72:73], exec
	s_mov_b64 s[62:63], 0
	s_waitcnt vmcnt(0)
	v_cmp_ne_u32_e32 vcc, v6, v19
	s_and_b64 s[86:87], vcc, exec
	s_or_b64 s[72:73], s[72:73], s[86:87]
.LBB15_30:                              ;   in Loop: Header=BB15_26 Depth=3
	s_or_b64 exec, exec, s[90:91]
	s_andn2_b64 s[68:69], s[68:69], exec
	s_and_b64 s[72:73], s[72:73], exec
	s_or_b64 s[68:69], s[68:69], s[72:73]
.LBB15_31:                              ;   in Loop: Header=BB15_26 Depth=3
	s_or_b64 exec, exec, s[70:71]
	s_andn2_b64 s[36:37], s[36:37], exec
	s_and_b64 s[68:69], s[68:69], exec
	s_or_b64 s[36:37], s[36:37], s[68:69]
.LBB15_32:                              ;   in Loop: Header=BB15_26 Depth=3
	s_or_b64 exec, exec, s[38:39]
	s_and_saveexec_b64 s[38:39], s[36:37]
; %bb.33:                               ;   in Loop: Header=BB15_26 Depth=3
	s_or_b64 s[62:63], s[62:63], exec
	v_mov_b32_e32 v8, v21
; %bb.34:                               ;   in Loop: Header=BB15_26 Depth=3
	s_or_b64 exec, exec, s[38:39]
	s_mov_b64 s[36:37], -1
	v_mov_b32_e32 v6, v8
                                        ; implicit-def: $vgpr12
	s_and_saveexec_b64 s[38:39], s[62:63]
	s_cbranch_execz .LBB15_25
; %bb.35:                               ;   in Loop: Header=BB15_26 Depth=3
	global_load_dword v12, v[10:11], off offset:4
	v_mov_b32_e32 v6, -1
	s_waitcnt vmcnt(0)
	v_cmp_eq_u32_e32 vcc, -1, v12
	s_orn2_b64 s[36:37], vcc, exec
	s_branch .LBB15_25
.LBB15_36:                              ;   in Loop: Header=BB15_13 Depth=2
	s_or_b64 exec, exec, s[8:9]
.LBB15_37:                              ;   in Loop: Header=BB15_13 Depth=2
	s_or_b64 exec, exec, s[6:7]
	v_cmp_ne_u32_e32 vcc, -1, v6
	s_and_b64 exec, exec, vcc
	s_cbranch_execz .LBB15_10
; %bb.38:                               ;   in Loop: Header=BB15_13 Depth=2
	v_mov_b32_e32 v8, 0
	s_and_saveexec_b64 s[6:7], s[4:5]
	s_cbranch_execz .LBB15_46
; %bb.39:                               ;   in Loop: Header=BB15_13 Depth=2
	s_mov_b32 s70, 0
	s_mov_b64 s[8:9], 0
	v_mov_b32_e32 v7, v72
                                        ; implicit-def: $sgpr36_sgpr37
                                        ; implicit-def: $sgpr62_sgpr63
                                        ; implicit-def: $sgpr38_sgpr39
	s_branch .LBB15_41
.LBB15_40:                              ;   in Loop: Header=BB15_41 Depth=3
	s_or_b64 exec, exec, s[68:69]
	s_and_b64 s[68:69], exec, s[62:63]
	s_or_b64 s[8:9], s[68:69], s[8:9]
	s_andn2_b64 s[36:37], s[36:37], exec
	s_and_b64 s[68:69], s[38:39], exec
	v_mov_b32_e32 v8, s72
	v_mov_b32_e32 v9, s70
	s_or_b64 s[36:37], s[36:37], s[68:69]
	s_mov_b32 s70, s71
	s_andn2_b64 exec, exec, s[8:9]
	s_cbranch_execz .LBB15_43
.LBB15_41:                              ;   Parent Loop BB15_4 Depth=1
                                        ;     Parent Loop BB15_13 Depth=2
                                        ; =>    This Inner Loop Header: Depth=3
	ds_read_b32 v8, v7
	s_or_b64 s[38:39], s[38:39], exec
	s_or_b64 s[62:63], s[62:63], exec
                                        ; implicit-def: $sgpr71
                                        ; implicit-def: $sgpr72
	s_waitcnt lgkmcnt(0)
	v_cmp_ne_u32_e32 vcc, v8, v6
	s_and_saveexec_b64 s[68:69], vcc
	s_cbranch_execz .LBB15_40
; %bb.42:                               ;   in Loop: Header=BB15_41 Depth=3
	s_add_i32 s71, s70, 1
	v_cmp_eq_u32_e32 vcc, s71, v15
	s_andn2_b64 s[62:63], s[62:63], exec
	s_and_b64 s[86:87], vcc, exec
	v_add_u32_e32 v7, 4, v7
	s_mov_b32 s72, 0
	s_andn2_b64 s[38:39], s[38:39], exec
	s_or_b64 s[62:63], s[62:63], s[86:87]
	s_branch .LBB15_40
.LBB15_43:                              ;   in Loop: Header=BB15_13 Depth=2
	s_or_b64 exec, exec, s[8:9]
	s_and_saveexec_b64 s[8:9], s[36:37]
	s_xor_b64 s[8:9], exec, s[8:9]
	s_cbranch_execz .LBB15_45
; %bb.44:                               ;   in Loop: Header=BB15_13 Depth=2
	v_lshl_add_u32 v7, v9, 2, v91
	buffer_load_dword v7, v7, s[0:3], 0 offen
	s_waitcnt vmcnt(0)
	v_cmp_eq_u32_e32 vcc, 0, v7
	v_cndmask_b32_e64 v8, 0, 1, vcc
.LBB15_45:                              ;   in Loop: Header=BB15_13 Depth=2
	s_or_b64 exec, exec, s[8:9]
.LBB15_46:                              ;   in Loop: Header=BB15_13 Depth=2
	s_or_b64 exec, exec, s[6:7]
	v_cmp_eq_u32_e32 vcc, 0, v8
	s_and_b64 exec, exec, vcc
	s_cbranch_execz .LBB15_10
; %bb.47:                               ;   in Loop: Header=BB15_13 Depth=2
	v_ashrrev_i32_e32 v7, 31, v6
	v_lshlrev_b64 v[8:9], 2, v[6:7]
	v_mov_b32_e32 v7, s51
	v_add_co_u32_e32 v8, vcc, s50, v8
	v_addc_co_u32_e32 v9, vcc, v7, v9, vcc
	global_load_dword v7, v[8:9], off
	v_add_u32_e32 v8, s33, v73
	buffer_store_dword v6, v8, s[0:3], 0 offen
	s_waitcnt vmcnt(1)
	buffer_store_dword v7, v16, s[0:3], 0 offen
	s_branch .LBB15_10
.LBB15_48:                              ;   in Loop: Header=BB15_4 Depth=1
	s_or_b64 exec, exec, s[22:23]
	s_and_b64 s[92:93], s[18:19], exec
	s_and_b64 s[90:91], s[16:17], exec
	s_orn2_b64 s[6:7], s[12:13], exec
.LBB15_49:                              ;   in Loop: Header=BB15_4 Depth=1
	s_or_b64 exec, exec, s[10:11]
	s_mov_b64 s[4:5], s[94:95]
	s_and_saveexec_b64 s[8:9], s[6:7]
	s_mov_b64 s[14:15], s[94:95]
	s_xor_b64 s[94:95], exec, s[8:9]
	s_cbranch_execz .LBB15_67
; %bb.50:                               ;   in Loop: Header=BB15_4 Depth=1
	v_writelane_b32 v94, s14, 27
	v_writelane_b32 v94, s15, 28
	v_readlane_b32 s4, v94, 22
	v_mov_b32_e32 v2, s4
	v_readlane_b32 s4, v94, 21
	v_add_co_u32_e32 v0, vcc, s4, v0
	v_addc_co_u32_e32 v1, vcc, v2, v1, vcc
	global_load_dword v63, v[0:1], off
	s_mov_b64 s[8:9], -1
                                        ; implicit-def: $sgpr4_sgpr5
                                        ; implicit-def: $sgpr6_sgpr7
	s_waitcnt vmcnt(0)
	v_cmp_lt_i32_e32 vcc, 0, v63
	s_and_saveexec_b64 s[96:97], vcc
	s_cbranch_execz .LBB15_64
; %bb.51:                               ;   in Loop: Header=BB15_4 Depth=1
	v_readlane_b32 s4, v94, 23
	v_readlane_b32 s5, v94, 24
	v_pk_mov_b32 v[0:1], s[4:5], s[4:5] op_sel:[0,1]
	s_movk_i32 s4, 0x50
	v_mad_i64_i32 v[78:79], s[4:5], v62, s4, v[0:1]
	s_mov_b32 s64, 0
	s_mov_b32 s86, -2
	s_mov_b64 s[98:99], 0
                                        ; implicit-def: $sgpr68_sgpr69
                                        ; implicit-def: $sgpr72_sgpr73
                                        ; implicit-def: $sgpr62_sgpr63
	s_branch .LBB15_53
.LBB15_52:                              ;   in Loop: Header=BB15_53 Depth=2
	s_or_b64 exec, exec, s[12:13]
	s_xor_b64 s[8:9], s[8:9], -1
	s_and_b64 s[10:11], exec, s[70:71]
	s_or_b64 s[98:99], s[10:11], s[98:99]
	s_andn2_b64 s[10:11], s[62:63], exec
	s_and_b64 s[8:9], s[8:9], exec
	s_or_b64 s[62:63], s[10:11], s[8:9]
	s_andn2_b64 s[8:9], s[72:73], exec
	s_and_b64 s[6:7], s[6:7], exec
	;; [unrolled: 3-line block ×3, first 2 shown]
	s_or_b64 s[68:69], s[6:7], s[4:5]
	s_andn2_b64 exec, exec, s[98:99]
	s_cbranch_execz .LBB15_63
.LBB15_53:                              ;   Parent Loop BB15_4 Depth=1
                                        ; =>  This Inner Loop Header: Depth=2
	global_load_dword v42, v[78:79], off
	s_mov_b64 s[70:71], -1
	s_mov_b64 s[10:11], -1
                                        ; implicit-def: $sgpr6_sgpr7
                                        ; implicit-def: $sgpr4_sgpr5
	s_waitcnt vmcnt(0)
	v_lshl_add_u32 v0, v42, 2, v56
	buffer_load_dword v0, v0, s[0:3], 0 offen
	s_waitcnt vmcnt(0)
	v_cmp_ne_u32_e32 vcc, v0, v40
	s_and_saveexec_b64 s[38:39], vcc
	s_cbranch_execz .LBB15_61
; %bb.54:                               ;   in Loop: Header=BB15_53 Depth=2
	s_mov_b32 s6, 0
	v_mov_b32_e32 v1, s6
	s_mov_b64 s[6:7], src_private_base
	v_mov_b32_e32 v0, v42
	v_mov_b32_e32 v2, s7
	;; [unrolled: 1-line block ×6, first 2 shown]
	s_getpc_b64 s[4:5]
	s_add_u32 s4, s4, _Z4EvaliPiiPN2rw7LibraryEi@rel32@lo+4
	s_addc_u32 s5, s5, _Z4EvaliPiiPN2rw7LibraryEi@rel32@hi+12
	s_swappc_b64 s[30:31], s[4:5]
	v_lshl_add_u32 v1, v42, 2, v59
	buffer_load_dword v1, v1, s[0:3], 0 offen
	s_mov_b64 s[6:7], 0
	s_mov_b64 s[10:11], 0
	s_waitcnt vmcnt(0)
	v_cmp_ne_u32_e32 vcc, -1, v1
	s_and_saveexec_b64 s[8:9], vcc
	s_cbranch_execz .LBB15_60
; %bb.55:                               ;   in Loop: Header=BB15_53 Depth=2
	v_sub_u32_e32 v0, v41, v0
	v_readlane_b32 s4, v94, 4
	v_or_b32_e32 v2, s4, v0
	v_cmp_ne_u32_e32 vcc, 0, v2
	v_max_i32_e32 v2, 0, v88
	v_cmp_le_i32_e64 s[4:5], v2, v0
	s_and_b64 s[4:5], s[4:5], vcc
	s_and_saveexec_b64 s[10:11], s[4:5]
	s_cbranch_execz .LBB15_59
; %bb.56:                               ;   in Loop: Header=BB15_53 Depth=2
	v_cmp_ne_u32_e32 vcc, v0, v88
	v_cmp_lt_i32_e64 s[4:5], v1, v90
	s_or_b64 s[12:13], vcc, s[4:5]
	s_and_saveexec_b64 s[4:5], s[12:13]
; %bb.57:                               ;   in Loop: Header=BB15_53 Depth=2
	v_mov_b32_e32 v58, s89
	v_mov_b32_e32 v57, s64
	v_mov_b32_e32 v88, v0
	v_mov_b32_e32 v90, v1
; %bb.58:                               ;   in Loop: Header=BB15_53 Depth=2
	s_or_b64 exec, exec, s[4:5]
.LBB15_59:                              ;   in Loop: Header=BB15_53 Depth=2
	s_or_b64 exec, exec, s[10:11]
	s_mov_b64 s[10:11], exec
.LBB15_60:                              ;   in Loop: Header=BB15_53 Depth=2
	s_or_b64 exec, exec, s[8:9]
	s_mov_b64 s[4:5], -1
	s_orn2_b64 s[10:11], s[10:11], exec
.LBB15_61:                              ;   in Loop: Header=BB15_53 Depth=2
	s_or_b64 exec, exec, s[38:39]
	s_mov_b64 s[8:9], s[4:5]
	s_and_saveexec_b64 s[12:13], s[10:11]
	s_cbranch_execz .LBB15_52
; %bb.62:                               ;   in Loop: Header=BB15_53 Depth=2
	v_add_co_u32_e32 v78, vcc, 4, v78
	s_add_i32 s64, s64, 1
	v_addc_co_u32_e32 v79, vcc, 0, v79, vcc
	v_cmp_eq_u32_e32 vcc, s64, v63
	s_add_i32 s86, s86, -1
	s_andn2_b64 s[8:9], s[4:5], exec
	s_orn2_b64 s[70:71], vcc, exec
	s_branch .LBB15_52
.LBB15_63:                              ;   in Loop: Header=BB15_4 Depth=1
	s_or_b64 exec, exec, s[98:99]
	s_and_b64 s[6:7], s[68:69], exec
	s_and_b64 s[4:5], s[72:73], exec
	s_orn2_b64 s[8:9], s[62:63], exec
.LBB15_64:                              ;   in Loop: Header=BB15_4 Depth=1
	s_or_b64 exec, exec, s[96:97]
	v_readlane_b32 s14, v94, 27
	v_readlane_b32 s15, v94, 28
	s_mov_b64 s[10:11], s[14:15]
	s_and_saveexec_b64 s[12:13], s[8:9]
	s_cbranch_execz .LBB15_66
; %bb.65:                               ;   in Loop: Header=BB15_4 Depth=1
	global_load_dword v0, v[76:77], off offset:20
	v_lshlrev_b32_e32 v1, 27, v93
	s_mov_b32 s8, 0x87ffffff
	s_andn2_b64 s[6:7], s[6:7], exec
	s_andn2_b64 s[4:5], s[4:5], exec
	s_or_b64 s[10:11], s[14:15], exec
	s_waitcnt vmcnt(0)
	v_and_or_b32 v0, v0, s8, v1
	global_store_dword v[76:77], v0, off offset:20
.LBB15_66:                              ;   in Loop: Header=BB15_4 Depth=1
	s_or_b64 exec, exec, s[12:13]
	s_andn2_b64 s[8:9], s[92:93], exec
	s_and_b64 s[6:7], s[6:7], exec
	s_or_b64 s[92:93], s[8:9], s[6:7]
	s_andn2_b64 s[6:7], s[90:91], exec
	s_and_b64 s[4:5], s[4:5], exec
	s_or_b64 s[90:91], s[6:7], s[4:5]
	;; [unrolled: 3-line block ×3, first 2 shown]
.LBB15_67:                              ;   in Loop: Header=BB15_4 Depth=1
	s_or_b64 exec, exec, s[94:95]
	s_andn2_b64 s[10:11], s[14:15], exec
	s_and_b64 s[4:5], s[4:5], exec
	s_and_b64 s[8:9], s[92:93], exec
	;; [unrolled: 1-line block ×3, first 2 shown]
	s_or_b64 s[94:95], s[10:11], s[4:5]
.LBB15_68:                              ;   in Loop: Header=BB15_4 Depth=1
	v_readlane_b32 s4, v94, 25
	v_readlane_b32 s5, v94, 26
	s_or_b64 exec, exec, s[4:5]
	s_and_b64 s[10:11], s[8:9], exec
	s_and_b64 s[8:9], s[6:7], exec
	s_orn2_b64 s[4:5], s[94:95], exec
.LBB15_69:                              ;   in Loop: Header=BB15_4 Depth=1
	s_or_b64 exec, exec, s[84:85]
	s_andn2_b64 s[12:13], s[82:83], exec
	s_and_b64 s[10:11], s[10:11], exec
	s_or_b64 s[82:83], s[12:13], s[10:11]
	s_andn2_b64 s[10:11], s[80:81], exec
	s_and_b64 s[8:9], s[8:9], exec
	s_mov_b64 s[6:7], -1
	s_or_b64 s[80:81], s[10:11], s[8:9]
	s_and_saveexec_b64 s[8:9], s[4:5]
	s_cbranch_execz .LBB15_3
; %bb.70:                               ;   in Loop: Header=BB15_4 Depth=1
	s_add_i32 s89, s89, 1
	s_cmp_eq_u32 s89, 8
	s_cselect_b64 s[4:5], -1, 0
	s_andn2_b64 s[82:83], s[82:83], exec
	s_andn2_b64 s[80:81], s[80:81], exec
	s_orn2_b64 s[6:7], s[4:5], exec
	s_branch .LBB15_3
.LBB15_71:
	s_or_b64 exec, exec, s[74:75]
	s_xor_b64 s[4:5], s[78:79], -1
	s_xor_b64 s[6:7], s[76:77], -1
	s_mov_b64 s[28:29], 0
	s_and_saveexec_b64 s[8:9], s[6:7]
	v_readlane_b32 s34, v94, 2
	v_readlane_b32 s36, v94, 0
	s_xor_b64 s[26:27], exec, s[8:9]
	v_readlane_b32 s35, v94, 3
	v_readlane_b32 s37, v94, 1
	s_cbranch_execnz .LBB15_79
; %bb.72:
	s_andn2_saveexec_b64 s[26:27], s[26:27]
	s_cbranch_execnz .LBB15_90
.LBB15_73:
	s_or_b64 exec, exec, s[26:27]
	s_and_saveexec_b64 s[4:5], s[28:29]
.LBB15_74:
	; divergent unreachable
.LBB15_75:
	s_or_b64 exec, exec, s[4:5]
                                        ; implicit-def: $vgpr44_vgpr45
.LBB15_76:
	s_andn2_saveexec_b64 s[4:5], s[36:37]
	s_cbranch_execz .LBB15_78
; %bb.77:
	v_mad_i64_i32 v[0:1], s[4:5], v44, 28, s[54:55]
	v_mov_b32_e32 v2, 0
	global_store_byte v[0:1], v2, off offset:52
.LBB15_78:
	s_endpgm
.LBB15_79:
	s_and_saveexec_b64 s[6:7], s[4:5]
	s_xor_b64 s[4:5], exec, s[6:7]
	s_cbranch_execz .LBB15_87
; %bb.80:
	v_cmp_ne_u32_e32 vcc, -1, v58
	s_and_saveexec_b64 s[6:7], vcc
	s_xor_b64 s[6:7], exec, s[6:7]
	s_cbranch_execz .LBB15_84
; %bb.81:
	s_mov_b64 s[10:11], exec
	v_mbcnt_lo_u32_b32 v0, s10, 0
	v_mbcnt_hi_u32_b32 v0, s11, v0
	v_cmp_eq_u32_e32 vcc, 0, v0
	s_and_saveexec_b64 s[8:9], vcc
	s_cbranch_execz .LBB15_83
; %bb.82:
	v_mov_b32_e32 v0, 0
	s_getpc_b64 s[12:13]
	s_add_u32 s12, s12, GPUexpected@rel32@lo+4
	s_addc_u32 s13, s13, GPUexpected@rel32@hi+12
	global_load_dwordx2 v[0:1], v0, s[12:13]
	s_bcnt1_i32_b64 s10, s[10:11]
	v_mov_b32_e32 v2, s10
	s_waitcnt vmcnt(0)
	global_atomic_add v[0:1], v2, off
.LBB15_83:
	s_or_b64 exec, exec, s[8:9]
	v_add_u32_e32 v0, v58, v45
	v_mad_i64_i32 v[8:9], s[8:9], v0, 28, s[52:53]
	global_load_dwordx4 v[0:3], v[8:9], off offset:12
	global_load_dwordx4 v[4:7], v[8:9], off
	v_mad_i64_i32 v[8:9], s[8:9], v44, 28, s[54:55]
	v_mov_b32_e32 v11, s41
	v_add_co_u32_e32 v10, vcc, s40, v46
	v_mov_b32_e32 v12, 1
	v_addc_co_u32_e32 v11, vcc, v11, v47, vcc
                                        ; implicit-def: $vgpr44_vgpr45
	s_waitcnt vmcnt(1)
	global_store_dwordx4 v[8:9], v[0:3], off offset:40
	s_waitcnt vmcnt(1)
	global_store_dwordx4 v[8:9], v[4:7], off offset:28
	global_store_byte v[8:9], v12, off offset:52
	global_store_dword v[10:11], v57, off offset:4
.LBB15_84:
	s_andn2_saveexec_b64 s[6:7], s[6:7]
	s_cbranch_execz .LBB15_86
; %bb.85:
	v_mad_i64_i32 v[0:1], s[8:9], v44, 28, s[54:55]
	v_mov_b32_e32 v2, 0
	global_store_byte v[0:1], v2, off offset:52
.LBB15_86:
	s_or_b64 exec, exec, s[6:7]
.LBB15_87:
	s_or_saveexec_b64 s[28:29], s[4:5]
	s_mov_b64 s[4:5], 0
	s_xor_b64 exec, exec, s[28:29]
	s_cbranch_execz .LBB15_89
; %bb.88:
	s_add_u32 s8, s34, 0x70
	s_addc_u32 s9, s35, 0
	s_getpc_b64 s[4:5]
	s_add_u32 s4, s4, .str.2@rel32@lo+4
	s_addc_u32 s5, s5, .str.2@rel32@hi+12
	s_getpc_b64 s[6:7]
	s_add_u32 s6, s6, __PRETTY_FUNCTION__._Z16EvaluateNodeWaveiPiS_S_S_S_S_PN2rw3CutES2_S_PNS0_7LibraryEPNS0_9TableNodeEPKii@rel32@lo+4
	s_addc_u32 s7, s7, __PRETTY_FUNCTION__._Z16EvaluateNodeWaveiPiS_S_S_S_S_PN2rw3CutES2_S_PNS0_7LibraryEPNS0_9TableNodeEPKii@rel32@hi+12
	v_mov_b32_e32 v0, s4
	v_mov_b32_e32 v1, s5
	;; [unrolled: 1-line block ×5, first 2 shown]
	s_getpc_b64 s[10:11]
	s_add_u32 s10, s10, __assert_fail@rel32@lo+4
	s_addc_u32 s11, s11, __assert_fail@rel32@hi+12
	s_swappc_b64 s[30:31], s[10:11]
	s_mov_b64 s[4:5], exec
.LBB15_89:
	s_or_b64 exec, exec, s[28:29]
	s_and_b64 s[28:29], s[4:5], exec
	s_andn2_saveexec_b64 s[26:27], s[26:27]
	s_cbranch_execz .LBB15_73
.LBB15_90:
	s_add_u32 s8, s34, 0x70
	s_addc_u32 s9, s35, 0
	s_getpc_b64 s[4:5]
	s_add_u32 s4, s4, .str@rel32@lo+4
	s_addc_u32 s5, s5, .str@rel32@hi+12
	s_getpc_b64 s[6:7]
	s_add_u32 s6, s6, __PRETTY_FUNCTION__._Z16EvaluateNodeWaveiPiS_S_S_S_S_PN2rw3CutES2_S_PNS0_7LibraryEPNS0_9TableNodeEPKii@rel32@lo+4
	s_addc_u32 s7, s7, __PRETTY_FUNCTION__._Z16EvaluateNodeWaveiPiS_S_S_S_S_PN2rw3CutES2_S_PNS0_7LibraryEPNS0_9TableNodeEPKii@rel32@hi+12
	v_mov_b32_e32 v0, s4
	v_mov_b32_e32 v1, s5
	;; [unrolled: 1-line block ×5, first 2 shown]
	s_getpc_b64 s[10:11]
	s_add_u32 s10, s10, __assert_fail@rel32@lo+4
	s_addc_u32 s11, s11, __assert_fail@rel32@hi+12
	s_swappc_b64 s[30:31], s[10:11]
	s_or_b64 s[28:29], s[28:29], exec
	s_or_b64 exec, exec, s[26:27]
	s_and_saveexec_b64 s[4:5], s[28:29]
	s_cbranch_execnz .LBB15_74
	s_branch .LBB15_75
	.section	.rodata,"a",@progbits
	.p2align	6, 0x0
	.amdhsa_kernel _Z16EvaluateNodeWaveiPiS_S_S_S_S_PN2rw3CutES2_S_PNS0_7LibraryEPNS0_9TableNodeEPKii
		.amdhsa_group_segment_fixed_size 32768
		.amdhsa_private_segment_fixed_size 576
		.amdhsa_kernarg_size 368
		.amdhsa_user_sgpr_count 10
		.amdhsa_user_sgpr_private_segment_buffer 1
		.amdhsa_user_sgpr_dispatch_ptr 1
		.amdhsa_user_sgpr_queue_ptr 0
		.amdhsa_user_sgpr_kernarg_segment_ptr 1
		.amdhsa_user_sgpr_dispatch_id 0
		.amdhsa_user_sgpr_flat_scratch_init 1
		.amdhsa_user_sgpr_kernarg_preload_length 0
		.amdhsa_user_sgpr_kernarg_preload_offset 0
		.amdhsa_user_sgpr_private_segment_size 0
		.amdhsa_uses_dynamic_stack 1
		.amdhsa_system_sgpr_private_segment_wavefront_offset 1
		.amdhsa_system_sgpr_workgroup_id_x 1
		.amdhsa_system_sgpr_workgroup_id_y 0
		.amdhsa_system_sgpr_workgroup_id_z 0
		.amdhsa_system_sgpr_workgroup_info 0
		.amdhsa_system_vgpr_workitem_id 2
		.amdhsa_next_free_vgpr 136
		.amdhsa_next_free_sgpr 100
		.amdhsa_accum_offset 96
		.amdhsa_reserve_vcc 1
		.amdhsa_reserve_flat_scratch 1
		.amdhsa_float_round_mode_32 0
		.amdhsa_float_round_mode_16_64 0
		.amdhsa_float_denorm_mode_32 3
		.amdhsa_float_denorm_mode_16_64 3
		.amdhsa_dx10_clamp 1
		.amdhsa_ieee_mode 1
		.amdhsa_fp16_overflow 0
		.amdhsa_tg_split 0
		.amdhsa_exception_fp_ieee_invalid_op 0
		.amdhsa_exception_fp_denorm_src 0
		.amdhsa_exception_fp_ieee_div_zero 0
		.amdhsa_exception_fp_ieee_overflow 0
		.amdhsa_exception_fp_ieee_underflow 0
		.amdhsa_exception_fp_ieee_inexact 0
		.amdhsa_exception_int_div_zero 0
	.end_amdhsa_kernel
	.text
.Lfunc_end15:
	.size	_Z16EvaluateNodeWaveiPiS_S_S_S_S_PN2rw3CutES2_S_PNS0_7LibraryEPNS0_9TableNodeEPKii, .Lfunc_end15-_Z16EvaluateNodeWaveiPiS_S_S_S_S_PN2rw3CutES2_S_PNS0_7LibraryEPNS0_9TableNodeEPKii
                                        ; -- End function
	.section	.AMDGPU.csdata,"",@progbits
; Kernel info:
; codeLenInByte = 5884
; NumSgprs: 106
; NumVgprs: 95
; NumAgprs: 40
; TotalNumVgprs: 136
; ScratchSize: 576
; MemoryBound: 0
; FloatMode: 240
; IeeeMode: 1
; LDSByteSize: 32768 bytes/workgroup (compile time only)
; SGPRBlocks: 13
; VGPRBlocks: 16
; NumSGPRsForWavesPerEU: 106
; NumVGPRsForWavesPerEU: 136
; AccumOffset: 96
; Occupancy: 3
; WaveLimiterHint : 1
; COMPUTE_PGM_RSRC2:SCRATCH_EN: 1
; COMPUTE_PGM_RSRC2:USER_SGPR: 10
; COMPUTE_PGM_RSRC2:TRAP_HANDLER: 0
; COMPUTE_PGM_RSRC2:TGID_X_EN: 1
; COMPUTE_PGM_RSRC2:TGID_Y_EN: 0
; COMPUTE_PGM_RSRC2:TGID_Z_EN: 0
; COMPUTE_PGM_RSRC2:TIDIG_COMP_CNT: 2
; COMPUTE_PGM_RSRC3_GFX90A:ACCUM_OFFSET: 23
; COMPUTE_PGM_RSRC3_GFX90A:TG_SPLIT: 0
	.text
	.p2alignl 6, 3212836864
	.fill 256, 4, 3212836864
	.type	__const.__assert_fail.fmt,@object ; @__const.__assert_fail.fmt
	.section	.rodata.str1.16,"aMS",@progbits,1
	.p2align	4, 0x0
__const.__assert_fail.fmt:
	.asciz	"%s:%u: %s: Device-side assertion `%s' failed.\n"
	.size	__const.__assert_fail.fmt, 47

	.protected	P.managed               ; @P.managed
	.type	P.managed,@object
	.section	.bss,"aw",@nobits
	.globl	P.managed
	.p2align	2, 0x0
P.managed:
	.long	0                               ; 0x0
	.size	P.managed, 4

	.protected	N.managed               ; @N.managed
	.type	N.managed,@object
	.globl	N.managed
	.p2align	2, 0x0
N.managed:
	.long	0                               ; 0x0
	.size	N.managed, 4

	.protected	GPUexpected.managed     ; @GPUexpected.managed
	.type	GPUexpected.managed,@object
	.globl	GPUexpected.managed
	.p2align	2, 0x0
GPUexpected.managed:
	.long	0                               ; 0x0
	.size	GPUexpected.managed, 4

	.protected	replaceHasFullCorrsp.managed ; @replaceHasFullCorrsp.managed
	.type	replaceHasFullCorrsp.managed,@object
	.globl	replaceHasFullCorrsp.managed
	.p2align	2, 0x0
replaceHasFullCorrsp.managed:
	.long	0                               ; 0x0
	.size	replaceHasFullCorrsp.managed, 4

	.type	__const._Z18MinimizeCutSupportPN2rw3CutE.masks,@object ; @__const._Z18MinimizeCutSupportPN2rw3CutE.masks
	.section	.rodata.cst32,"aM",@progbits,32
	.p2align	4, 0x0
__const._Z18MinimizeCutSupportPN2rw3CutE.masks:
	.long	21845                           ; 0x5555
	.long	43690                           ; 0xaaaa
	;; [unrolled: 1-line block ×4, first 2 shown]
	.long	3855                            ; 0xf0f
	.long	61680                           ; 0xf0f0
	.long	255                             ; 0xff
	.long	65280                           ; 0xff00
	.size	__const._Z18MinimizeCutSupportPN2rw3CutE.masks, 32

	.type	.str,@object                    ; @.str
	.section	.rodata.str1.1,"aMS",@progbits,1
.str:
	.asciz	"matchLevel[in0] != -1 && matchLevel[in1] != -1"
	.size	.str, 47

	.type	.str.1,@object                  ; @.str.1
.str.1:
	.asciz	"/root/src/amdgpu-assembly/repos/zjin-lcf__HeCBench/src/logic-rewrite-hip/rewrite.cu"
	.size	.str.1, 84

	.type	__PRETTY_FUNCTION__._Z12EvaluateNodeiPiS_S_S_S_S_PN2rw3CutES2_S_PNS0_7LibraryEPNS0_9TableNodeEi,@object ; @__PRETTY_FUNCTION__._Z12EvaluateNodeiPiS_S_S_S_S_PN2rw3CutES2_S_PNS0_7LibraryEPNS0_9TableNodeEi
__PRETTY_FUNCTION__._Z12EvaluateNodeiPiS_S_S_S_S_PN2rw3CutES2_S_PNS0_7LibraryEPNS0_9TableNodeEi:
	.asciz	"void EvaluateNode(int, int *, int *, int *, int *, int *, int *, Cut *, Cut *, int *, Library *, TableNode *, int)"
	.size	__PRETTY_FUNCTION__._Z12EvaluateNodeiPiS_S_S_S_S_PN2rw3CutES2_S_PNS0_7LibraryEPNS0_9TableNodeEi, 115

	.type	.str.2,@object                  ; @.str.2
.str.2:
	.asciz	"rtLevel != -1"
	.size	.str.2, 14

	.type	.str.3,@object                  ; @.str.3
.str.3:
	.asciz	"cut#%d details: truthtable %d, used%d, nLeaves=%d, leaves=%d %d %d %d\n"
	.size	.str.3, 71

	.type	.str.4,@object                  ; @.str.4
.str.4:
	.asciz	"Selected %d: %d %d\n"
	.size	.str.4, 20

	.type	__PRETTY_FUNCTION__._Z16EvaluateNodeWaveiPiS_S_S_S_S_PN2rw3CutES2_S_PNS0_7LibraryEPNS0_9TableNodeEPKii,@object ; @__PRETTY_FUNCTION__._Z16EvaluateNodeWaveiPiS_S_S_S_S_PN2rw3CutES2_S_PNS0_7LibraryEPNS0_9TableNodeEPKii
__PRETTY_FUNCTION__._Z16EvaluateNodeWaveiPiS_S_S_S_S_PN2rw3CutES2_S_PNS0_7LibraryEPNS0_9TableNodeEPKii:
	.asciz	"void EvaluateNodeWave(int, int *, int *, int *, int *, int *, int *, Cut *, Cut *, int *, Library *, TableNode *, const int *, int)"
	.size	__PRETTY_FUNCTION__._Z16EvaluateNodeWaveiPiS_S_S_S_S_PN2rw3CutES2_S_PNS0_7LibraryEPNS0_9TableNodeEPKii, 132

	.protected	P                       ; @P
	.type	P,@object
	.section	.bss,"aw",@nobits
	.globl	P
	.p2align	3, 0x0
P:
	.quad	0
	.size	P, 8

	.protected	N                       ; @N
	.type	N,@object
	.globl	N
	.p2align	3, 0x0
N:
	.quad	0
	.size	N, 8

	.protected	GPUexpected             ; @GPUexpected
	.type	GPUexpected,@object
	.globl	GPUexpected
	.p2align	3, 0x0
GPUexpected:
	.quad	0
	.size	GPUexpected, 8

	.protected	replaceHasFullCorrsp    ; @replaceHasFullCorrsp
	.type	replaceHasFullCorrsp,@object
	.globl	replaceHasFullCorrsp
	.p2align	3, 0x0
replaceHasFullCorrsp:
	.quad	0
	.size	replaceHasFullCorrsp, 8

	.type	__hip_cuid_d0aeeef5d7c73497,@object ; @__hip_cuid_d0aeeef5d7c73497
	.globl	__hip_cuid_d0aeeef5d7c73497
__hip_cuid_d0aeeef5d7c73497:
	.byte	0                               ; 0x0
	.size	__hip_cuid_d0aeeef5d7c73497, 1

	.ident	"AMD clang version 19.0.0git (https://github.com/RadeonOpenCompute/llvm-project roc-6.4.0 25133 c7fe45cf4b819c5991fe208aaa96edf142730f1d)"
	.section	".note.GNU-stack","",@progbits
	.addrsig
	.addrsig_sym P.managed
	.addrsig_sym N.managed
	.addrsig_sym GPUexpected.managed
	.addrsig_sym replaceHasFullCorrsp.managed
	.addrsig_sym P
	.addrsig_sym N
	.addrsig_sym GPUexpected
	.addrsig_sym replaceHasFullCorrsp
	.addrsig_sym __hip_cuid_d0aeeef5d7c73497
	.amdgpu_metadata
---
amdhsa.kernels:
  - .agpr_count:     0
    .args:
      - .address_space:  global
        .offset:         0
        .size:           8
        .value_kind:     global_buffer
      - .address_space:  global
        .offset:         8
        .size:           8
        .value_kind:     global_buffer
      - .offset:         16
        .size:           4
        .value_kind:     by_value
      - .offset:         24
        .size:           4
        .value_kind:     hidden_block_count_x
      - .offset:         28
        .size:           4
        .value_kind:     hidden_block_count_y
      - .offset:         32
        .size:           4
        .value_kind:     hidden_block_count_z
      - .offset:         36
        .size:           2
        .value_kind:     hidden_group_size_x
      - .offset:         38
        .size:           2
        .value_kind:     hidden_group_size_y
      - .offset:         40
        .size:           2
        .value_kind:     hidden_group_size_z
      - .offset:         42
        .size:           2
        .value_kind:     hidden_remainder_x
      - .offset:         44
        .size:           2
        .value_kind:     hidden_remainder_y
      - .offset:         46
        .size:           2
        .value_kind:     hidden_remainder_z
      - .offset:         64
        .size:           8
        .value_kind:     hidden_global_offset_x
      - .offset:         72
        .size:           8
        .value_kind:     hidden_global_offset_y
      - .offset:         80
        .size:           8
        .value_kind:     hidden_global_offset_z
      - .offset:         88
        .size:           2
        .value_kind:     hidden_grid_dims
    .group_segment_fixed_size: 0
    .kernarg_segment_align: 8
    .kernarg_segment_size: 280
    .language:       OpenCL C
    .language_version:
      - 2
      - 0
    .max_flat_workgroup_size: 1024
    .name:           _Z6InputsPiPN2rw3CutEi
    .private_segment_fixed_size: 0
    .sgpr_count:     11
    .sgpr_spill_count: 0
    .symbol:         _Z6InputsPiPN2rw3CutEi.kd
    .uniform_work_group_size: 1
    .uses_dynamic_stack: false
    .vgpr_count:     5
    .vgpr_spill_count: 0
    .wavefront_size: 64
  - .agpr_count:     0
    .args:
      - .address_space:  global
        .offset:         0
        .size:           8
        .value_kind:     global_buffer
      - .address_space:  global
        .offset:         8
        .size:           8
        .value_kind:     global_buffer
      - .address_space:  global
        .offset:         16
        .size:           8
        .value_kind:     global_buffer
      - .address_space:  global
        .offset:         24
        .size:           8
        .value_kind:     global_buffer
      - .address_space:  global
        .offset:         32
        .size:           8
        .value_kind:     global_buffer
      - .address_space:  global
        .offset:         40
        .size:           8
        .value_kind:     global_buffer
      - .offset:         48
        .size:           4
        .value_kind:     by_value
      - .offset:         52
        .size:           4
        .value_kind:     by_value
      - .offset:         56
        .size:           4
        .value_kind:     hidden_block_count_x
      - .offset:         60
        .size:           4
        .value_kind:     hidden_block_count_y
      - .offset:         64
        .size:           4
        .value_kind:     hidden_block_count_z
      - .offset:         68
        .size:           2
        .value_kind:     hidden_group_size_x
      - .offset:         70
        .size:           2
        .value_kind:     hidden_group_size_y
      - .offset:         72
        .size:           2
        .value_kind:     hidden_group_size_z
      - .offset:         74
        .size:           2
        .value_kind:     hidden_remainder_x
      - .offset:         76
        .size:           2
        .value_kind:     hidden_remainder_y
      - .offset:         78
        .size:           2
        .value_kind:     hidden_remainder_z
      - .offset:         96
        .size:           8
        .value_kind:     hidden_global_offset_x
      - .offset:         104
        .size:           8
        .value_kind:     hidden_global_offset_y
      - .offset:         112
        .size:           8
        .value_kind:     hidden_global_offset_z
      - .offset:         120
        .size:           2
        .value_kind:     hidden_grid_dims
    .group_segment_fixed_size: 31744
    .kernarg_segment_align: 8
    .kernarg_segment_size: 312
    .language:       OpenCL C
    .language_version:
      - 2
      - 0
    .max_flat_workgroup_size: 1024
    .name:           _Z12CutEnumeratePiS_S_S_S_PN2rw3CutEii
    .private_segment_fixed_size: 144
    .sgpr_count:     84
    .sgpr_spill_count: 0
    .symbol:         _Z12CutEnumeratePiS_S_S_S_PN2rw3CutEii.kd
    .uniform_work_group_size: 1
    .uses_dynamic_stack: false
    .vgpr_count:     67
    .vgpr_spill_count: 0
    .wavefront_size: 64
  - .agpr_count:     40
    .args:
      - .offset:         0
        .size:           4
        .value_kind:     by_value
      - .address_space:  global
        .offset:         8
        .size:           8
        .value_kind:     global_buffer
      - .address_space:  global
        .offset:         16
        .size:           8
        .value_kind:     global_buffer
      - .address_space:  global
        .offset:         24
        .size:           8
        .value_kind:     global_buffer
      - .address_space:  global
        .offset:         32
        .size:           8
        .value_kind:     global_buffer
      - .address_space:  global
        .offset:         40
        .size:           8
        .value_kind:     global_buffer
      - .address_space:  global
        .offset:         48
        .size:           8
        .value_kind:     global_buffer
      - .address_space:  global
        .offset:         56
        .size:           8
        .value_kind:     global_buffer
      - .address_space:  global
        .offset:         64
        .size:           8
        .value_kind:     global_buffer
      - .address_space:  global
        .offset:         72
        .size:           8
        .value_kind:     global_buffer
      - .address_space:  global
        .offset:         80
        .size:           8
        .value_kind:     global_buffer
      - .address_space:  global
        .offset:         88
        .size:           8
        .value_kind:     global_buffer
      - .offset:         96
        .size:           4
        .value_kind:     by_value
      - .offset:         104
        .size:           4
        .value_kind:     hidden_block_count_x
      - .offset:         108
        .size:           4
        .value_kind:     hidden_block_count_y
      - .offset:         112
        .size:           4
        .value_kind:     hidden_block_count_z
      - .offset:         116
        .size:           2
        .value_kind:     hidden_group_size_x
      - .offset:         118
        .size:           2
        .value_kind:     hidden_group_size_y
      - .offset:         120
        .size:           2
        .value_kind:     hidden_group_size_z
      - .offset:         122
        .size:           2
        .value_kind:     hidden_remainder_x
      - .offset:         124
        .size:           2
        .value_kind:     hidden_remainder_y
      - .offset:         126
        .size:           2
        .value_kind:     hidden_remainder_z
      - .offset:         144
        .size:           8
        .value_kind:     hidden_global_offset_x
      - .offset:         152
        .size:           8
        .value_kind:     hidden_global_offset_y
      - .offset:         160
        .size:           8
        .value_kind:     hidden_global_offset_z
      - .offset:         168
        .size:           2
        .value_kind:     hidden_grid_dims
      - .offset:         184
        .size:           8
        .value_kind:     hidden_hostcall_buffer
    .group_segment_fixed_size: 32768
    .kernarg_segment_align: 8
    .kernarg_segment_size: 360
    .language:       OpenCL C
    .language_version:
      - 2
      - 0
    .max_flat_workgroup_size: 1024
    .name:           _Z12EvaluateNodeiPiS_S_S_S_S_PN2rw3CutES2_S_PNS0_7LibraryEPNS0_9TableNodeEi
    .private_segment_fixed_size: 576
    .sgpr_count:     106
    .sgpr_spill_count: 27
    .symbol:         _Z12EvaluateNodeiPiS_S_S_S_S_PN2rw3CutES2_S_PNS0_7LibraryEPNS0_9TableNodeEi.kd
    .uniform_work_group_size: 1
    .uses_dynamic_stack: true
    .vgpr_count:     136
    .vgpr_spill_count: 0
    .wavefront_size: 64
  - .agpr_count:     0
    .args:
      - .address_space:  global
        .offset:         0
        .size:           8
        .value_kind:     global_buffer
      - .offset:         8
        .size:           4
        .value_kind:     by_value
      - .address_space:  global
        .offset:         16
        .size:           8
        .value_kind:     global_buffer
      - .address_space:  global
        .offset:         24
        .size:           8
        .value_kind:     global_buffer
      - .address_space:  global
        .offset:         32
        .size:           8
        .value_kind:     global_buffer
      - .address_space:  global
        .offset:         40
        .size:           8
        .value_kind:     global_buffer
      - .offset:         48
        .size:           4
        .value_kind:     hidden_block_count_x
      - .offset:         52
        .size:           4
        .value_kind:     hidden_block_count_y
      - .offset:         56
        .size:           4
        .value_kind:     hidden_block_count_z
      - .offset:         60
        .size:           2
        .value_kind:     hidden_group_size_x
      - .offset:         62
        .size:           2
        .value_kind:     hidden_group_size_y
      - .offset:         64
        .size:           2
        .value_kind:     hidden_group_size_z
      - .offset:         66
        .size:           2
        .value_kind:     hidden_remainder_x
      - .offset:         68
        .size:           2
        .value_kind:     hidden_remainder_y
      - .offset:         70
        .size:           2
        .value_kind:     hidden_remainder_z
      - .offset:         88
        .size:           8
        .value_kind:     hidden_global_offset_x
      - .offset:         96
        .size:           8
        .value_kind:     hidden_global_offset_y
      - .offset:         104
        .size:           8
        .value_kind:     hidden_global_offset_z
      - .offset:         112
        .size:           2
        .value_kind:     hidden_grid_dims
    .group_segment_fixed_size: 0
    .kernarg_segment_align: 8
    .kernarg_segment_size: 304
    .language:       OpenCL C
    .language_version:
      - 2
      - 0
    .max_flat_workgroup_size: 1024
    .name:           _Z14BuildHashTablePN2rw9TableNodeEiPiS2_S2_S2_
    .private_segment_fixed_size: 0
    .sgpr_count:     20
    .sgpr_spill_count: 0
    .symbol:         _Z14BuildHashTablePN2rw9TableNodeEiPiS2_S2_S2_.kd
    .uniform_work_group_size: 1
    .uses_dynamic_stack: false
    .vgpr_count:     12
    .vgpr_spill_count: 0
    .wavefront_size: 64
  - .agpr_count:     44
    .args:
      - .offset:         0
        .size:           4
        .value_kind:     by_value
      - .address_space:  global
        .offset:         8
        .size:           8
        .value_kind:     global_buffer
      - .address_space:  global
        .offset:         16
        .size:           8
        .value_kind:     global_buffer
      - .address_space:  global
        .offset:         24
        .size:           8
        .value_kind:     global_buffer
      - .address_space:  global
        .offset:         32
        .size:           8
        .value_kind:     global_buffer
      - .address_space:  global
        .offset:         40
        .size:           8
        .value_kind:     global_buffer
      - .address_space:  global
        .offset:         48
        .size:           8
        .value_kind:     global_buffer
      - .address_space:  global
        .offset:         56
        .size:           8
        .value_kind:     global_buffer
      - .address_space:  global
        .offset:         64
        .size:           8
        .value_kind:     global_buffer
      - .address_space:  global
        .offset:         72
        .size:           8
        .value_kind:     global_buffer
      - .address_space:  global
        .offset:         80
        .size:           8
        .value_kind:     global_buffer
      - .address_space:  global
        .offset:         88
        .size:           8
        .value_kind:     global_buffer
      - .offset:         96
        .size:           4
        .value_kind:     hidden_block_count_x
      - .offset:         100
        .size:           4
        .value_kind:     hidden_block_count_y
      - .offset:         104
        .size:           4
        .value_kind:     hidden_block_count_z
      - .offset:         108
        .size:           2
        .value_kind:     hidden_group_size_x
      - .offset:         110
        .size:           2
        .value_kind:     hidden_group_size_y
      - .offset:         112
        .size:           2
        .value_kind:     hidden_group_size_z
      - .offset:         114
        .size:           2
        .value_kind:     hidden_remainder_x
      - .offset:         116
        .size:           2
        .value_kind:     hidden_remainder_y
      - .offset:         118
        .size:           2
        .value_kind:     hidden_remainder_z
      - .offset:         136
        .size:           8
        .value_kind:     hidden_global_offset_x
      - .offset:         144
        .size:           8
        .value_kind:     hidden_global_offset_y
      - .offset:         152
        .size:           8
        .value_kind:     hidden_global_offset_z
      - .offset:         160
        .size:           2
        .value_kind:     hidden_grid_dims
    .group_segment_fixed_size: 28672
    .kernarg_segment_align: 8
    .kernarg_segment_size: 352
    .language:       OpenCL C
    .language_version:
      - 2
      - 0
    .max_flat_workgroup_size: 1024
    .name:           _Z12ReplaceSubgriPiS_S_S_S_PN2rw3CutEPNS0_7LibraryEPNS0_9TableNodeES6_S_S_
    .private_segment_fixed_size: 352
    .sgpr_count:     70
    .sgpr_spill_count: 0
    .symbol:         _Z12ReplaceSubgriPiS_S_S_S_PN2rw3CutEPNS0_7LibraryEPNS0_9TableNodeES6_S_S_.kd
    .uniform_work_group_size: 1
    .uses_dynamic_stack: true
    .vgpr_count:     108
    .vgpr_spill_count: 0
    .wavefront_size: 64
  - .agpr_count:     0
    .args:
      - .offset:         0
        .size:           4
        .value_kind:     by_value
      - .address_space:  global
        .offset:         8
        .size:           8
        .value_kind:     global_buffer
      - .address_space:  global
        .offset:         16
        .size:           8
        .value_kind:     global_buffer
      - .address_space:  global
        .offset:         24
        .size:           8
        .value_kind:     global_buffer
      - .offset:         32
        .size:           4
        .value_kind:     hidden_block_count_x
      - .offset:         36
        .size:           4
        .value_kind:     hidden_block_count_y
      - .offset:         40
        .size:           4
        .value_kind:     hidden_block_count_z
      - .offset:         44
        .size:           2
        .value_kind:     hidden_group_size_x
      - .offset:         46
        .size:           2
        .value_kind:     hidden_group_size_y
      - .offset:         48
        .size:           2
        .value_kind:     hidden_group_size_z
      - .offset:         50
        .size:           2
        .value_kind:     hidden_remainder_x
      - .offset:         52
        .size:           2
        .value_kind:     hidden_remainder_y
      - .offset:         54
        .size:           2
        .value_kind:     hidden_remainder_z
      - .offset:         72
        .size:           8
        .value_kind:     hidden_global_offset_x
      - .offset:         80
        .size:           8
        .value_kind:     hidden_global_offset_y
      - .offset:         88
        .size:           8
        .value_kind:     hidden_global_offset_z
      - .offset:         96
        .size:           2
        .value_kind:     hidden_grid_dims
    .group_segment_fixed_size: 0
    .kernarg_segment_align: 8
    .kernarg_segment_size: 288
    .language:       OpenCL C
    .language_version:
      - 2
      - 0
    .max_flat_workgroup_size: 1024
    .name:           _Z15DetachAndAttachiPiS_S_
    .private_segment_fixed_size: 0
    .sgpr_count:     11
    .sgpr_spill_count: 0
    .symbol:         _Z15DetachAndAttachiPiS_S_.kd
    .uniform_work_group_size: 1
    .uses_dynamic_stack: false
    .vgpr_count:     7
    .vgpr_spill_count: 0
    .wavefront_size: 64
  - .agpr_count:     0
    .args:
      - .offset:         0
        .size:           4
        .value_kind:     by_value
      - .address_space:  global
        .offset:         8
        .size:           8
        .value_kind:     global_buffer
      - .offset:         16
        .size:           4
        .value_kind:     hidden_block_count_x
      - .offset:         20
        .size:           4
        .value_kind:     hidden_block_count_y
      - .offset:         24
        .size:           4
        .value_kind:     hidden_block_count_z
      - .offset:         28
        .size:           2
        .value_kind:     hidden_group_size_x
      - .offset:         30
        .size:           2
        .value_kind:     hidden_group_size_y
      - .offset:         32
        .size:           2
        .value_kind:     hidden_group_size_z
      - .offset:         34
        .size:           2
        .value_kind:     hidden_remainder_x
      - .offset:         36
        .size:           2
        .value_kind:     hidden_remainder_y
      - .offset:         38
        .size:           2
        .value_kind:     hidden_remainder_z
      - .offset:         56
        .size:           8
        .value_kind:     hidden_global_offset_x
      - .offset:         64
        .size:           8
        .value_kind:     hidden_global_offset_y
      - .offset:         72
        .size:           8
        .value_kind:     hidden_global_offset_z
      - .offset:         80
        .size:           2
        .value_kind:     hidden_grid_dims
      - .offset:         96
        .size:           8
        .value_kind:     hidden_hostcall_buffer
    .group_segment_fixed_size: 0
    .kernarg_segment_align: 8
    .kernarg_segment_size: 272
    .language:       OpenCL C
    .language_version:
      - 2
      - 0
    .max_flat_workgroup_size: 1024
    .name:           _Z9printCutsiPN2rw3CutE
    .private_segment_fixed_size: 0
    .sgpr_count:     35
    .sgpr_spill_count: 0
    .symbol:         _Z9printCutsiPN2rw3CutE.kd
    .uniform_work_group_size: 1
    .uses_dynamic_stack: false
    .vgpr_count:     43
    .vgpr_spill_count: 0
    .wavefront_size: 64
  - .agpr_count:     0
    .args:
      - .address_space:  global
        .offset:         0
        .size:           8
        .value_kind:     global_buffer
      - .address_space:  global
        .offset:         8
        .size:           8
        .value_kind:     global_buffer
      - .offset:         16
        .size:           4
        .value_kind:     by_value
      - .offset:         24
        .size:           4
        .value_kind:     hidden_block_count_x
      - .offset:         28
        .size:           4
        .value_kind:     hidden_block_count_y
      - .offset:         32
        .size:           4
        .value_kind:     hidden_block_count_z
      - .offset:         36
        .size:           2
        .value_kind:     hidden_group_size_x
      - .offset:         38
        .size:           2
        .value_kind:     hidden_group_size_y
      - .offset:         40
        .size:           2
        .value_kind:     hidden_group_size_z
      - .offset:         42
        .size:           2
        .value_kind:     hidden_remainder_x
      - .offset:         44
        .size:           2
        .value_kind:     hidden_remainder_y
      - .offset:         46
        .size:           2
        .value_kind:     hidden_remainder_z
      - .offset:         64
        .size:           8
        .value_kind:     hidden_global_offset_x
      - .offset:         72
        .size:           8
        .value_kind:     hidden_global_offset_y
      - .offset:         80
        .size:           8
        .value_kind:     hidden_global_offset_z
      - .offset:         88
        .size:           2
        .value_kind:     hidden_grid_dims
    .group_segment_fixed_size: 0
    .kernarg_segment_align: 8
    .kernarg_segment_size: 280
    .language:       OpenCL C
    .language_version:
      - 2
      - 0
    .max_flat_workgroup_size: 1024
    .name:           _Z7ConvertPiS_i
    .private_segment_fixed_size: 0
    .sgpr_count:     11
    .sgpr_spill_count: 0
    .symbol:         _Z7ConvertPiS_i.kd
    .uniform_work_group_size: 1
    .uses_dynamic_stack: false
    .vgpr_count:     6
    .vgpr_spill_count: 0
    .wavefront_size: 64
  - .agpr_count:     0
    .args:
      - .address_space:  global
        .offset:         0
        .size:           8
        .value_kind:     global_buffer
      - .address_space:  global
        .offset:         8
        .size:           8
        .value_kind:     global_buffer
      - .offset:         16
        .size:           4
        .value_kind:     by_value
      - .offset:         24
        .size:           4
        .value_kind:     hidden_block_count_x
      - .offset:         28
        .size:           4
        .value_kind:     hidden_block_count_y
      - .offset:         32
        .size:           4
        .value_kind:     hidden_block_count_z
      - .offset:         36
        .size:           2
        .value_kind:     hidden_group_size_x
      - .offset:         38
        .size:           2
        .value_kind:     hidden_group_size_y
      - .offset:         40
        .size:           2
        .value_kind:     hidden_group_size_z
      - .offset:         42
        .size:           2
        .value_kind:     hidden_remainder_x
      - .offset:         44
        .size:           2
        .value_kind:     hidden_remainder_y
      - .offset:         46
        .size:           2
        .value_kind:     hidden_remainder_z
      - .offset:         64
        .size:           8
        .value_kind:     hidden_global_offset_x
      - .offset:         72
        .size:           8
        .value_kind:     hidden_global_offset_y
      - .offset:         80
        .size:           8
        .value_kind:     hidden_global_offset_z
      - .offset:         88
        .size:           2
        .value_kind:     hidden_grid_dims
    .group_segment_fixed_size: 0
    .kernarg_segment_align: 8
    .kernarg_segment_size: 280
    .language:       OpenCL C
    .language_version:
      - 2
      - 0
    .max_flat_workgroup_size: 1024
    .name:           _Z6RevertPiS_i
    .private_segment_fixed_size: 0
    .sgpr_count:     11
    .sgpr_spill_count: 0
    .symbol:         _Z6RevertPiS_i.kd
    .uniform_work_group_size: 1
    .uses_dynamic_stack: false
    .vgpr_count:     6
    .vgpr_spill_count: 0
    .wavefront_size: 64
  - .agpr_count:     0
    .args:
      - .offset:         0
        .size:           4
        .value_kind:     by_value
      - .address_space:  global
        .offset:         8
        .size:           8
        .value_kind:     global_buffer
      - .address_space:  global
        .offset:         16
        .size:           8
        .value_kind:     global_buffer
      - .offset:         24
        .size:           4
        .value_kind:     hidden_block_count_x
      - .offset:         28
        .size:           4
        .value_kind:     hidden_block_count_y
      - .offset:         32
        .size:           4
        .value_kind:     hidden_block_count_z
      - .offset:         36
        .size:           2
        .value_kind:     hidden_group_size_x
      - .offset:         38
        .size:           2
        .value_kind:     hidden_group_size_y
      - .offset:         40
        .size:           2
        .value_kind:     hidden_group_size_z
      - .offset:         42
        .size:           2
        .value_kind:     hidden_remainder_x
      - .offset:         44
        .size:           2
        .value_kind:     hidden_remainder_y
      - .offset:         46
        .size:           2
        .value_kind:     hidden_remainder_z
      - .offset:         64
        .size:           8
        .value_kind:     hidden_global_offset_x
      - .offset:         72
        .size:           8
        .value_kind:     hidden_global_offset_y
      - .offset:         80
        .size:           8
        .value_kind:     hidden_global_offset_z
      - .offset:         88
        .size:           2
        .value_kind:     hidden_grid_dims
      - .offset:         104
        .size:           8
        .value_kind:     hidden_hostcall_buffer
    .group_segment_fixed_size: 0
    .kernarg_segment_align: 8
    .kernarg_segment_size: 280
    .language:       OpenCL C
    .language_version:
      - 2
      - 0
    .max_flat_workgroup_size: 1024
    .name:           _Z5printiPN2rw3CutEPi
    .private_segment_fixed_size: 0
    .sgpr_count:     34
    .sgpr_spill_count: 0
    .symbol:         _Z5printiPN2rw3CutEPi.kd
    .uniform_work_group_size: 1
    .uses_dynamic_stack: false
    .vgpr_count:     38
    .vgpr_spill_count: 0
    .wavefront_size: 64
  - .agpr_count:     40
    .args:
      - .offset:         0
        .size:           4
        .value_kind:     by_value
      - .address_space:  global
        .offset:         8
        .size:           8
        .value_kind:     global_buffer
      - .address_space:  global
        .offset:         16
        .size:           8
        .value_kind:     global_buffer
      - .address_space:  global
        .offset:         24
        .size:           8
        .value_kind:     global_buffer
      - .address_space:  global
        .offset:         32
        .size:           8
        .value_kind:     global_buffer
      - .address_space:  global
        .offset:         40
        .size:           8
        .value_kind:     global_buffer
      - .address_space:  global
        .offset:         48
        .size:           8
        .value_kind:     global_buffer
      - .address_space:  global
        .offset:         56
        .size:           8
        .value_kind:     global_buffer
      - .address_space:  global
        .offset:         64
        .size:           8
        .value_kind:     global_buffer
      - .address_space:  global
        .offset:         72
        .size:           8
        .value_kind:     global_buffer
      - .address_space:  global
        .offset:         80
        .size:           8
        .value_kind:     global_buffer
      - .address_space:  global
        .offset:         88
        .size:           8
        .value_kind:     global_buffer
      - .address_space:  global
        .offset:         96
        .size:           8
        .value_kind:     global_buffer
      - .offset:         104
        .size:           4
        .value_kind:     by_value
      - .offset:         112
        .size:           4
        .value_kind:     hidden_block_count_x
      - .offset:         116
        .size:           4
        .value_kind:     hidden_block_count_y
      - .offset:         120
        .size:           4
        .value_kind:     hidden_block_count_z
      - .offset:         124
        .size:           2
        .value_kind:     hidden_group_size_x
      - .offset:         126
        .size:           2
        .value_kind:     hidden_group_size_y
      - .offset:         128
        .size:           2
        .value_kind:     hidden_group_size_z
      - .offset:         130
        .size:           2
        .value_kind:     hidden_remainder_x
      - .offset:         132
        .size:           2
        .value_kind:     hidden_remainder_y
      - .offset:         134
        .size:           2
        .value_kind:     hidden_remainder_z
      - .offset:         152
        .size:           8
        .value_kind:     hidden_global_offset_x
      - .offset:         160
        .size:           8
        .value_kind:     hidden_global_offset_y
      - .offset:         168
        .size:           8
        .value_kind:     hidden_global_offset_z
      - .offset:         176
        .size:           2
        .value_kind:     hidden_grid_dims
      - .offset:         192
        .size:           8
        .value_kind:     hidden_hostcall_buffer
    .group_segment_fixed_size: 32768
    .kernarg_segment_align: 8
    .kernarg_segment_size: 368
    .language:       OpenCL C
    .language_version:
      - 2
      - 0
    .max_flat_workgroup_size: 1024
    .name:           _Z16EvaluateNodeWaveiPiS_S_S_S_S_PN2rw3CutES2_S_PNS0_7LibraryEPNS0_9TableNodeEPKii
    .private_segment_fixed_size: 576
    .sgpr_count:     106
    .sgpr_spill_count: 29
    .symbol:         _Z16EvaluateNodeWaveiPiS_S_S_S_S_PN2rw3CutES2_S_PNS0_7LibraryEPNS0_9TableNodeEPKii.kd
    .uniform_work_group_size: 1
    .uses_dynamic_stack: true
    .vgpr_count:     136
    .vgpr_spill_count: 0
    .wavefront_size: 64
amdhsa.target:   amdgcn-amd-amdhsa--gfx90a
amdhsa.version:
  - 1
  - 2
...

	.end_amdgpu_metadata
